;; amdgpu-corpus repo=ROCm/Tensile kind=harvested arch=n/a opt=n/a

/******************************************/
/* Function Prefix                        */
/******************************************/



/******************************************/
/* Begin Kernel                           */
/******************************************/

// Component.Signature.SignatureDefault
.amdgcn_target "amdgcn-amd-amdhsa--gfx90a"
.text
.protected Cijk_Alik_Bljk_DB_MT256x128x16_MI16x16x4x1_SN_1LDSB1_APM1_AF0EM2_AF1EM2_AMAS3_ASGT332_ASLT_ASAE01_ASCE01_ASEM1_BL0_BS1_CLR0_DTLA0_DTLB0_DTVA0_DVO0_EPS0_FL0_GLVWA2_GLVWB2_GRVW2_GSU875_GSUASB_GLS0_ISA90a_IU1_K1_KLA_LBSPPA0_LBSPPB0_LPA2_LPB2_LDL1_LRVW2_LDW0_FMA_MIAV0_MMFGLC_NTA0_NTB0_NTC3_NTD3_NEPBS2_NLCA1_NLCB1_ONLL1_OPLV0_PK0_PAP0_PGR2_PLR5_SIA3_SS1_SU0_SUM0_SUS0_SCIUI1_SPO1_SRVW0_SSO2_SVW2_SNLL0_TT4_128_TLDS1_UMLDSA1_UMLDSB1_USFGROn1_VAW1_VSn1_VW2_VWB1_VFLRP0_WSGRA0_WSGRB0_WG64_4_1_WGM7
.globl Cijk_Alik_Bljk_DB_MT256x128x16_MI16x16x4x1_SN_1LDSB1_APM1_AF0EM2_AF1EM2_AMAS3_ASGT332_ASLT_ASAE01_ASCE01_ASEM1_BL0_BS1_CLR0_DTLA0_DTLB0_DTVA0_DVO0_EPS0_FL0_GLVWA2_GLVWB2_GRVW2_GSU875_GSUASB_GLS0_ISA90a_IU1_K1_KLA_LBSPPA0_LBSPPB0_LPA2_LPB2_LDL1_LRVW2_LDW0_FMA_MIAV0_MMFGLC_NTA0_NTB0_NTC3_NTD3_NEPBS2_NLCA1_NLCB1_ONLL1_OPLV0_PK0_PAP0_PGR2_PLR5_SIA3_SS1_SU0_SUM0_SUS0_SCIUI1_SPO1_SRVW0_SSO2_SVW2_SNLL0_TT4_128_TLDS1_UMLDSA1_UMLDSB1_USFGROn1_VAW1_VSn1_VW2_VWB1_VFLRP0_WSGRA0_WSGRB0_WG64_4_1_WGM7
.p2align 8
.type Cijk_Alik_Bljk_DB_MT256x128x16_MI16x16x4x1_SN_1LDSB1_APM1_AF0EM2_AF1EM2_AMAS3_ASGT332_ASLT_ASAE01_ASCE01_ASEM1_BL0_BS1_CLR0_DTLA0_DTLB0_DTVA0_DVO0_EPS0_FL0_GLVWA2_GLVWB2_GRVW2_GSU875_GSUASB_GLS0_ISA90a_IU1_K1_KLA_LBSPPA0_LBSPPB0_LPA2_LPB2_LDL1_LRVW2_LDW0_FMA_MIAV0_MMFGLC_NTA0_NTB0_NTC3_NTD3_NEPBS2_NLCA1_NLCB1_ONLL1_OPLV0_PK0_PAP0_PGR2_PLR5_SIA3_SS1_SU0_SUM0_SUS0_SCIUI1_SPO1_SRVW0_SSO2_SVW2_SNLL0_TT4_128_TLDS1_UMLDSA1_UMLDSB1_USFGROn1_VAW1_VSn1_VW2_VWB1_VFLRP0_WSGRA0_WSGRB0_WG64_4_1_WGM7,@function
.section .rodata,#alloc
.p2align 6
.amdhsa_kernel Cijk_Alik_Bljk_DB_MT256x128x16_MI16x16x4x1_SN_1LDSB1_APM1_AF0EM2_AF1EM2_AMAS3_ASGT332_ASLT_ASAE01_ASCE01_ASEM1_BL0_BS1_CLR0_DTLA0_DTLB0_DTVA0_DVO0_EPS0_FL0_GLVWA2_GLVWB2_GRVW2_GSU875_GSUASB_GLS0_ISA90a_IU1_K1_KLA_LBSPPA0_LBSPPB0_LPA2_LPB2_LDL1_LRVW2_LDW0_FMA_MIAV0_MMFGLC_NTA0_NTB0_NTC3_NTD3_NEPBS2_NLCA1_NLCB1_ONLL1_OPLV0_PK0_PAP0_PGR2_PLR5_SIA3_SS1_SU0_SUM0_SUS0_SCIUI1_SPO1_SRVW0_SSO2_SVW2_SNLL0_TT4_128_TLDS1_UMLDSA1_UMLDSB1_USFGROn1_VAW1_VSn1_VW2_VWB1_VFLRP0_WSGRA0_WSGRB0_WG64_4_1_WGM7
  .amdhsa_user_sgpr_kernarg_segment_ptr 1
  .amdhsa_user_sgpr_kernarg_preload_offset 0
  .amdhsa_user_sgpr_kernarg_preload_length 0
  .amdhsa_user_sgpr_count 2
  .amdhsa_accum_offset 256 // accvgpr offset
  .amdhsa_next_free_vgpr 512 // vgprs
  .amdhsa_next_free_sgpr 62 // sgprs
  .amdhsa_group_segment_fixed_size 55296 // lds bytes
  .amdhsa_private_segment_fixed_size 0
  .amdhsa_system_sgpr_workgroup_id_x 1
  .amdhsa_system_sgpr_workgroup_id_y 1
  .amdhsa_system_sgpr_workgroup_id_z 1
  .amdhsa_system_vgpr_workitem_id 0
  .amdhsa_float_denorm_mode_32 3
  .amdhsa_float_denorm_mode_16_64 3
.end_amdhsa_kernel
.text

/******************************************/
/* Optimizations and Config:              */
/******************************************/
/* ThreadTile= 16 x 8 */
/* SubGroup= 16 x 16 */
/* VectorWidthA=2 */
/* VectorWidthB=1 */
/* GlobalLoadVectorWidthA=2, GlobalLoadVectorWidthB=2 */
/* DirectToLdsA=False */
/* DirectToLdsB=False */
/* UseSgprForGRO=False */
.amdgpu_metadata
---
amdhsa.version:
  - 1
  - 1
amdhsa.target: amdgcn-amd-amdhsa--gfx90a
amdhsa.kernels:
  - .name: Cijk_Alik_Bljk_DB_MT256x128x16_MI16x16x4x1_SN_1LDSB1_APM1_AF0EM2_AF1EM2_AMAS3_ASGT332_ASLT_ASAE01_ASCE01_ASEM1_BL0_BS1_CLR0_DTLA0_DTLB0_DTVA0_DVO0_EPS0_FL0_GLVWA2_GLVWB2_GRVW2_GSU875_GSUASB_GLS0_ISA90a_IU1_K1_KLA_LBSPPA0_LBSPPB0_LPA2_LPB2_LDL1_LRVW2_LDW0_FMA_MIAV0_MMFGLC_NTA0_NTB0_NTC3_NTD3_NEPBS2_NLCA1_NLCB1_ONLL1_OPLV0_PK0_PAP0_PGR2_PLR5_SIA3_SS1_SU0_SUM0_SUS0_SCIUI1_SPO1_SRVW0_SSO2_SVW2_SNLL0_TT4_128_TLDS1_UMLDSA1_UMLDSB1_USFGROn1_VAW1_VSn1_VW2_VWB1_VFLRP0_WSGRA0_WSGRB0_WG64_4_1_WGM7
    .symbol: 'Cijk_Alik_Bljk_DB_MT256x128x16_MI16x16x4x1_SN_1LDSB1_APM1_AF0EM2_AF1EM2_AMAS3_ASGT332_ASLT_ASAE01_ASCE01_ASEM1_BL0_BS1_CLR0_DTLA0_DTLB0_DTVA0_DVO0_EPS0_FL0_GLVWA2_GLVWB2_GRVW2_GSU875_GSUASB_GLS0_ISA90a_IU1_K1_KLA_LBSPPA0_LBSPPB0_LPA2_LPB2_LDL1_LRVW2_LDW0_FMA_MIAV0_MMFGLC_NTA0_NTB0_NTC3_NTD3_NEPBS2_NLCA1_NLCB1_ONLL1_OPLV0_PK0_PAP0_PGR2_PLR5_SIA3_SS1_SU0_SUM0_SUS0_SCIUI1_SPO1_SRVW0_SSO2_SVW2_SNLL0_TT4_128_TLDS1_UMLDSA1_UMLDSB1_USFGROn1_VAW1_VSn1_VW2_VWB1_VFLRP0_WSGRA0_WSGRB0_WG64_4_1_WGM7.kd'
    .language:                   OpenCL C
    .language_version:
      - 2
      - 0
    .args:
      - .name:            Tensor2dSizeA
        .size:            8
        .offset:          0
        .value_kind:      by_value
        .value_type:      u64
      - .name:            Tensor2dSizeB
        .size:            8
        .offset:          8
        .value_kind:      by_value
        .value_type:      u64
      - .name:            AddressD
        .size:            8
        .offset:          16
        .value_kind:      by_value
        .value_type:      u64
      - .name:            AddressC
        .size:            8
        .offset:          24
        .value_kind:      by_value
        .value_type:      u64
      - .name:            AddressA
        .size:            8
        .offset:          32
        .value_kind:      by_value
        .value_type:      u64
      - .name:            AddressB
        .size:            8
        .offset:          40
        .value_kind:      by_value
        .value_type:      u64
      - .name:            Alpha
        .size:            8
        .offset:          48
        .value_kind:      by_value
        .value_type:      u64
      - .name:            Beta
        .size:            8
        .offset:          56
        .value_kind:      by_value
        .value_type:      u64
      - .name:            StridesD
        .size:            8
        .offset:          64
        .value_kind:      by_value
        .value_type:      u64
      - .name:            StridesC
        .size:            8
        .offset:          72
        .value_kind:      by_value
        .value_type:      u64
      - .name:            StridesA
        .size:            8
        .offset:          80
        .value_kind:      by_value
        .value_type:      u64
      - .name:            StridesB
        .size:            8
        .offset:          88
        .value_kind:      by_value
        .value_type:      u64
      - .name:            SizesFree
        .size:            12
        .offset:          96
        .value_kind:      by_value
        .value_type:      u96
      - .name:            SizesSum
        .size:            4
        .offset:          108
        .value_kind:      by_value
        .value_type:      u32
      - .name:            NumWorkGroups0
        .size:            4
        .offset:          112
        .value_kind:      by_value
        .value_type:      u32
      - .name:            NumWorkGroups1
        .size:            4
        .offset:          116
        .value_kind:      by_value
        .value_type:      u32
      - .name:            NumFullBlocks
        .size:            4
        .offset:          120
        .value_kind:      by_value
        .value_type:      u32
      - .name:            WgmRemainder1
        .size:            4
        .offset:          124
        .value_kind:      by_value
        .value_type:      u32
      - .name:            MagicNumberWgmRemainder1
        .size:            4
        .offset:          128
        .value_kind:      by_value
        .value_type:      u32
    .group_segment_fixed_size:   55296
    .kernarg_segment_align:      8
    .kernarg_segment_size:       136
    .max_flat_workgroup_size:    256
    .private_segment_fixed_size: 0
    .sgpr_count:                 62
    .sgpr_spill_count:           0
    .vgpr_count:                 256
    .vgpr_spill_count:           0
    .wavefront_size:             64
...
.end_amdgpu_metadata
Cijk_Alik_Bljk_DB_MT256x128x16_MI16x16x4x1_SN_1LDSB1_APM1_AF0EM2_AF1EM2_AMAS3_ASGT332_ASLT_ASAE01_ASCE01_ASEM1_BL0_BS1_CLR0_DTLA0_DTLB0_DTVA0_DVO0_EPS0_FL0_GLVWA2_GLVWB2_GRVW2_GSU875_GSUASB_GLS0_ISA90a_IU1_K1_KLA_LBSPPA0_LBSPPB0_LPA2_LPB2_LDL1_LRVW2_LDW0_FMA_MIAV0_MMFGLC_NTA0_NTB0_NTC3_NTD3_NEPBS2_NLCA1_NLCB1_ONLL1_OPLV0_PK0_PAP0_PGR2_PLR5_SIA3_SS1_SU0_SUM0_SUS0_SCIUI1_SPO1_SRVW0_SSO2_SVW2_SNLL0_TT4_128_TLDS1_UMLDSA1_UMLDSB1_USFGROn1_VAW1_VSn1_VW2_VWB1_VFLRP0_WSGRA0_WSGRB0_WG64_4_1_WGM7:

/******************************************/
/* Asm syntax workarounds                 */
/******************************************/
.macro _v_add_co_u32 dst:req, cc:req, src0:req, src1:req, dpp=
   v_add_co_u32 \dst, \cc, \src0, \src1 \dpp
.endm

.macro _v_add_u32 dst:req, src0:req, src1:req, dpp=
   v_add_u32 \dst, \src0, \src1 \dpp
.endm

.macro _v_add_i32 dst:req, src0:req, src1:req, dpp=
   v_add_i32 \dst, \src0, \src1 \dpp
.endm

.macro _v_addc_co_u32 dst:req, ccOut:req, src0:req, ccIn:req, src1:req, dpp=
   v_addc_co_u32 \dst, \ccOut, \src0, \ccIn, \src1 \dpp
.endm

.macro _v_sub_co_u32 dst:req, cc:req, src0:req, src1:req, dpp=
   v_sub_co_u32 \dst, \cc, \src0, \src1 \dpp
.endm

.macro _v_sub_u32 dst:req, src0:req, src1:req, dpp=
   v_sub_u32 \dst, \src0, \src1 \dpp
.endm

.macro _v_sub_i32 dst:req, src0:req, src1:req, dpp=
   v_sub_i32 \dst, \src0, \src1 \dpp
.endm

.macro _v_add_lshl_u32 dst:req, src0:req, src1:req, shiftCnt:req
    v_add_lshl_u32 \dst, \src0, \src1, \shiftCnt
.endm

.macro _v_lshl_add_u32 dst:req, src0:req, src1:req, shiftCnt:req
    v_lshl_add_u32 \dst, \src0, \src1, \shiftCnt
.endm

.macro _v_lshl_or_b32 dst:req, src0:req, shiftCnt:req, src1:req
    v_lshl_or_b32 \dst, \src0, \shiftCnt, \src1
.endm

.macro _v_dot2acc_f32_f16 dst, src0, src1
v_dot2c_f32_f16 \dst, \src0, \src1
.endm

.macro _v_cmpx_lt_i16 dst, src0, src1=
   v_cmpx_lt_i16 \dst, \src0, \src1 
.endm

.macro _v_cmpx_lt_i32 dst, src0, src1=
   v_cmpx_lt_i32 \dst, \src0, \src1 
.endm

.macro _v_cmpx_lt_i64 dst, src0, src1=
   v_cmpx_lt_i64 \dst, \src0, \src1 
.endm

.macro _v_cmpx_lt_u16 dst, src0, src1=
   v_cmpx_lt_u16 \dst, \src0, \src1 
.endm

.macro _v_cmpx_lt_u32 dst, src0, src1=
   v_cmpx_lt_u32 \dst, \src0, \src1 
.endm

.macro _v_cmpx_lt_u64 dst, src0, src1=
   v_cmpx_lt_u64 \dst, \src0, \src1 
.endm

.macro _v_cmpx_eq_i16 dst, src0, src1=
   v_cmpx_eq_i16 \dst, \src0, \src1 
.endm

.macro _v_cmpx_eq_i32 dst, src0, src1=
   v_cmpx_eq_i32 \dst, \src0, \src1 
.endm

.macro _v_cmpx_eq_i64 dst, src0, src1=
   v_cmpx_eq_i64 \dst, \src0, \src1 
.endm

.macro _v_cmpx_eq_u16 dst, src0, src1=
   v_cmpx_eq_u16 \dst, \src0, \src1 
.endm

.macro _v_cmpx_eq_u32 dst, src0, src1=
   v_cmpx_eq_u32 \dst, \src0, \src1 
.endm

.macro _v_cmpx_eq_u64 dst, src0, src1=
   v_cmpx_eq_u64 \dst, \src0, \src1 
.endm

.macro _v_cmpx_le_i16 dst, src0, src1=
   v_cmpx_le_i16 \dst, \src0, \src1 
.endm

.macro _v_cmpx_le_i32 dst, src0, src1=
   v_cmpx_le_i32 \dst, \src0, \src1 
.endm

.macro _v_cmpx_le_i64 dst, src0, src1=
   v_cmpx_le_i64 \dst, \src0, \src1 
.endm

.macro _v_cmpx_le_u16 dst, src0, src1=
   v_cmpx_le_u16 \dst, \src0, \src1 
.endm

.macro _v_cmpx_le_u32 dst, src0, src1=
   v_cmpx_le_u32 \dst, \src0, \src1 
.endm

.macro _v_cmpx_le_u64 dst, src0, src1=
   v_cmpx_le_u64 \dst, \src0, \src1 
.endm

.macro _v_cmpx_gt_i16 dst, src0, src1=
   v_cmpx_gt_i16 \dst, \src0, \src1 
.endm

.macro _v_cmpx_gt_i32 dst, src0, src1=
   v_cmpx_gt_i32 \dst, \src0, \src1 
.endm

.macro _v_cmpx_gt_i64 dst, src0, src1=
   v_cmpx_gt_i64 \dst, \src0, \src1 
.endm

.macro _v_cmpx_gt_u16 dst, src0, src1=
   v_cmpx_gt_u16 \dst, \src0, \src1 
.endm

.macro _v_cmpx_gt_u32 dst, src0, src1=
   v_cmpx_gt_u32 \dst, \src0, \src1 
.endm

.macro _v_cmpx_gt_u64 dst, src0, src1=
   v_cmpx_gt_u64 \dst, \src0, \src1 
.endm

.macro _v_cmpx_ne_i16 dst, src0, src1=
   v_cmpx_ne_i16 \dst, \src0, \src1 
.endm

.macro _v_cmpx_ne_i32 dst, src0, src1=
   v_cmpx_ne_i32 \dst, \src0, \src1 
.endm

.macro _v_cmpx_ne_i64 dst, src0, src1=
   v_cmpx_ne_i64 \dst, \src0, \src1 
.endm

.macro _v_cmpx_ne_u16 dst, src0, src1=
   v_cmpx_ne_u16 \dst, \src0, \src1 
.endm

.macro _v_cmpx_ne_u32 dst, src0, src1=
   v_cmpx_ne_u32 \dst, \src0, \src1 
.endm

.macro _v_cmpx_ne_u64 dst, src0, src1=
   v_cmpx_ne_u64 \dst, \src0, \src1 
.endm

.macro _v_cmpx_lg_i16 dst, src0, src1=
   v_cmpx_lg_i16 \dst, \src0, \src1 
.endm

.macro _v_cmpx_lg_i32 dst, src0, src1=
   v_cmpx_lg_i32 \dst, \src0, \src1 
.endm

.macro _v_cmpx_lg_i64 dst, src0, src1=
   v_cmpx_lg_i64 \dst, \src0, \src1 
.endm

.macro _v_cmpx_lg_u16 dst, src0, src1=
   v_cmpx_lg_u16 \dst, \src0, \src1 
.endm

.macro _v_cmpx_lg_u32 dst, src0, src1=
   v_cmpx_lg_u32 \dst, \src0, \src1 
.endm

.macro _v_cmpx_lg_u64 dst, src0, src1=
   v_cmpx_lg_u64 \dst, \src0, \src1 
.endm

.macro _v_cmpx_ge_i16 dst, src0, src1=
   v_cmpx_ge_i16 \dst, \src0, \src1 
.endm

.macro _v_cmpx_ge_i32 dst, src0, src1=
   v_cmpx_ge_i32 \dst, \src0, \src1 
.endm

.macro _v_cmpx_ge_i64 dst, src0, src1=
   v_cmpx_ge_i64 \dst, \src0, \src1 
.endm

.macro _v_cmpx_ge_u16 dst, src0, src1=
   v_cmpx_ge_u16 \dst, \src0, \src1 
.endm

.macro _v_cmpx_ge_u32 dst, src0, src1=
   v_cmpx_ge_u32 \dst, \src0, \src1 
.endm

.macro _v_cmpx_ge_u64 dst, src0, src1=
   v_cmpx_ge_u64 \dst, \src0, \src1 
.endm

.macro _v_cmpx_o_i16 dst, src0, src1=
   v_cmpx_o_i16 \dst, \src0, \src1 
.endm

.macro _v_cmpx_o_i32 dst, src0, src1=
   v_cmpx_o_i32 \dst, \src0, \src1 
.endm

.macro _v_cmpx_o_i64 dst, src0, src1=
   v_cmpx_o_i64 \dst, \src0, \src1 
.endm

.macro _v_cmpx_o_u16 dst, src0, src1=
   v_cmpx_o_u16 \dst, \src0, \src1 
.endm

.macro _v_cmpx_o_u32 dst, src0, src1=
   v_cmpx_o_u32 \dst, \src0, \src1 
.endm

.macro _v_cmpx_o_u64 dst, src0, src1=
   v_cmpx_o_u64 \dst, \src0, \src1 
.endm

.macro _v_cmpx_u_i16 dst, src0, src1=
   v_cmpx_u_i16 \dst, \src0, \src1 
.endm

.macro _v_cmpx_u_i32 dst, src0, src1=
   v_cmpx_u_i32 \dst, \src0, \src1 
.endm

.macro _v_cmpx_u_i64 dst, src0, src1=
   v_cmpx_u_i64 \dst, \src0, \src1 
.endm

.macro _v_cmpx_u_u16 dst, src0, src1=
   v_cmpx_u_u16 \dst, \src0, \src1 
.endm

.macro _v_cmpx_u_u32 dst, src0, src1=
   v_cmpx_u_u32 \dst, \src0, \src1 
.endm

.macro _v_cmpx_u_u64 dst, src0, src1=
   v_cmpx_u_u64 \dst, \src0, \src1 
.endm
.macro _v_mac_f32 c:req, a:req, b:req
    v_fmac_f32 \c, \a, \b
.endmacro

/* scale global load macros */
.macro _s_load_b32 dst base offset
    s_load_dword \dst \base \offset
.endm

.macro _s_load_b64 dst base offset
    s_load_dwordx2 \dst \base \offset
.endm

.macro _s_load_b128 dst base offset
    s_load_dwordx4 \dst \base \offset
.endm

.macro _s_load_b256 dst base offset
    s_load_dwordx8 \dst \base \offset
.endm

.macro _s_load_b512 dst base offset
    s_load_dwordx16 \dst \base \offset
.endm


/* ds operation macros */
.macro _ds_load_u8 dst src offset
    ds_read_u8 \dst \src \offset
.endm

.macro _ds_load_u8_d16_hi dst src offset
    ds_read_u8_d16_hi \dst \src \offset
.endm

.macro _ds_load_u16 dst src offset
    ds_read_u16 \dst \src \offset
.endm

.macro _ds_load_u16_d16_hi dst src offset
    ds_read_u16_d16_hi \dst \src \offset
.endm

.macro _ds_load_b32 dst src offset
    ds_read_b32 \dst \src \offset
.endm

.macro _ds_load_b64 dst src offset
    ds_read_b64 \dst \src \offset
.endm

.macro _ds_load_b128 dst src offset
    ds_read_b128 \dst \src \offset
.endm

.macro _ds_store_b8 dst src offset
    ds_write_b8 \dst \src \offset
.endm

.macro _ds_store_b8_d16_hi dst src offset
    ds_write_b8_d16_hi \dst \src \offset
.endm

.macro _ds_store_b16 dst src offset
    ds_write_b16 \dst \src \offset
.endm

.macro _ds_store_b16_d16_hi dst src offset
    ds_write_b16_d16_hi \dst \src \offset
.endm

.macro _ds_store_b32 dst src offset
    ds_write_b32 \dst \src \offset
.endm

.macro _ds_store_b64 dst src offset
    ds_write_b64 \dst \src \offset
.endm

.macro _ds_store_b128 dst src offset
    ds_write_b128 \dst \src \offset
.endm

.macro _ds_load2_b32 dst src offset1 offset2
    ds_read2_b32 \dst \src \offset1 \offset2
.endm

.macro _ds_load2_b64 dst src offset1 offset2
    ds_read2_b64 \dst \src \offset1 \offset2
.endm

.macro _ds_store2_b32 dst src offset1 offset2
    ds_write2_b32 \dst \src \offset1 \offset2
.endm

.macro _ds_store2_b64 dst src offset1 offset2
    ds_write2_b64 \dst \src \offset1 \offset2
.endm


/* buffer memory operation macros */
.macro _buffer_load_b32 dst voffset base soffset offen ioffset md0 md1 md2
    buffer_load_dword \dst \voffset \base \soffset \offen \ioffset \md0 \md1 \md2
.endm

.macro _buffer_load_b64 dst voffset base soffset offen ioffset md0 md1 md2
    buffer_load_dwordx2 \dst \voffset \base \soffset \offen \ioffset \md0 \md1 \md2
.endm

.macro _buffer_load_b96 dst voffset base soffset offen ioffset md0 md1 md2
    buffer_load_dwordx3 \dst \voffset \base \soffset \offen \ioffset \md0 \md1 \md2
.endm

.macro _buffer_load_b128 dst voffset base soffset offen ioffset md0 md1 md2
    buffer_load_dwordx4 \dst \voffset \base \soffset \offen \ioffset \md0 \md1 \md2
.endm

.macro _buffer_load_d16_b16 dst voffset base soffset offen ioffset md0 md1 md2
    buffer_load_short_d16 \dst \voffset \base \soffset \offen \ioffset \md0 \md1 \md2
.endm

.macro _buffer_load_d16_hi_b16 dst voffset base soffset offen ioffset md0 md1 md2
    buffer_load_short_d16_hi \dst \voffset \base \soffset \offen \ioffset \md0 \md1 \md2
.endm

.macro _buffer_load_d16_u8 dst voffset base soffset offen ioffset md0 md1 md2
    buffer_load_ubyte_d16 \dst \voffset \base \soffset \offen \ioffset \md0 \md1 \md2
.endm

.macro _buffer_load_d16_hi_u8 dst voffset base soffset offen ioffset md0 md1 md2
    buffer_load_ubyte_d16_hi \dst \voffset \base \soffset \offen \ioffset \md0 \md1 \md2
.endm

.macro _buffer_load_u16 dst voffset base soffset offen ioffset md0 md1 md2
    buffer_load_ushort \dst \voffset \base \soffset \offen \ioffset \md0 \md1 \md2
.endm

.macro _buffer_load_b32_dtl voffset base soffset offen ioffset md0 md1 md2
    buffer_load_dword \voffset \base \soffset \offen \ioffset \md0 \md1 \md2
.endm

.macro _buffer_load_b64_dtl voffset base soffset offen ioffset md0 md1 md2
    buffer_load_dwordx2 \voffset \base \soffset \offen \ioffset \md0 \md1 \md2
.endm

.macro _buffer_load_b128_dtl voffset base soffset offen ioffset md0 md1 md2
    buffer_load_dwordx4 \voffset \base \soffset \offen \ioffset \md0 \md1 \md2
.endm

.macro _buffer_load_u16_dtl voffset base soffset offen ioffset md0 md1 md2
    buffer_load_ushort \voffset \base \soffset \offen \ioffset \md0 \md1 \md2
.endm

.macro _buffer_store_b32 src voffset base soffset offen ioffset md0 md1 md2
    buffer_store_dword \src \voffset \base \soffset \offen \ioffset \md0 \md1 \md2
.endm

.macro _buffer_store_b64 src voffset base soffset offen ioffset md0 md1 md2
    buffer_store_dwordx2 \src \voffset \base \soffset \offen \ioffset \md0 \md1 \md2
.endm

.macro _buffer_store_b96 src voffset base soffset offen ioffset md0 md1 md2
    buffer_store_dwordx3 \src \voffset \base \soffset \offen \ioffset \md0 \md1 \md2
.endm

.macro _buffer_store_b128 src voffset base soffset offen ioffset md0 md1 md2
    buffer_store_dwordx4 \src \voffset \base \soffset \offen \ioffset \md0 \md1 \md2
.endm

.macro _buffer_store_b16 src voffset base soffset offen ioffset md0 md1 md2
    buffer_store_short \src \voffset \base \soffset \offen \ioffset \md0 \md1 \md2
.endm

.macro _buffer_store_d16_hi_b16 src voffset base soffset offen ioffset md0 md1 md2
    buffer_store_short_d16_hi \src \voffset \base \soffset \offen \ioffset \md0 \md1 \md2
.endm

.macro _buffer_store_b8 src voffset base soffset offen ioffset md0 md1 md2
    buffer_store_byte \src \voffset \base \soffset \offen \ioffset \md0 \md1 \md2
.endm

.macro _buffer_store_d16_hi_b8 src voffset base soffset offen ioffset md0 md1 md2
    buffer_store_byte_d16_hi \src \voffset \base \soffset \offen \ioffset \md0 \md1 \md2
.endm

.macro _buffer_atomic_cmpswap_b32 dst voffset base soffset offen ioffset md0 md1 md2
    buffer_atomic_cmpswap \dst \voffset \base \soffset \offen \ioffset \md0 \md1 \md2
.endm

.macro _buffer_atomic_cmpswap_b64 dst voffset base soffset offen ioffset md0 md1 md2
    buffer_atomic_cmpswap_x2 \dst \voffset \base \soffset \offen \ioffset \md0 \md1 \md2
.endm


/* buffer memory operation macros */
.macro _global_load_b32 dst base src ioffset md0 md1 md2
    global_load_dword \dst \base \src \ioffset \md0 \md1 \md2
.endm

.macro _global_load_b64 dst base src ioffset md0 md1 md2
    global_load_dwordx2 \dst \base \src \ioffset \md0 \md1 \md2
.endm

.macro _global_load_b96 dst base src ioffset md0 md1 md2
    global_load_dwordx3 \dst \base \src \ioffset \md0 \md1 \md2
.endm

.macro _global_load_b128 dst base src ioffset md0 md1 md2
    global_load_dwordx4 \dst \base \src \ioffset \md0 \md1 \md2
.endm

.macro _global_load_d16_b16 dst base src ioffset md0 md1 md2
    global_load_short_d16 \dst \base \src \ioffset \md0 \md1 \md2
.endm

.macro _global_load_d16_hi_b16 dst base src ioffset md0 md1 md2
    global_load_short_d16_hi \dst \base \src \ioffset \md0 \md1 \md2
.endm

.macro _global_load_d16_u8 dst base src ioffset md0 md1 md2
    global_load_ubyte_d16 \dst \base \src \ioffset \md0 \md1 \md2
.endm

.macro _global_load_d16_hi_u8 dst base src ioffset md0 md1 md2
    global_load_ubyte_d16_hi \dst \base \src \ioffset \md0 \md1 \md2
.endm

.macro _global_load_u16 dst base src ioffset md0 md1 md2
    global_load_ushort \dst \base \src \ioffset \md0 \md1 \md2
.endm

.macro _global_store_b32 base src src2 md0 md1 md2
    global_store_dword \base \src \src2 \md0 \md1 \md2
.endm

.macro _global_store_b64 base src src2 md0 md1 md2
    global_store_dwordx2 \base \src \src2 \md0 \md1 \md2
.endm

.macro _global_store_b96 base src src2 md0 md1 md2
    global_store_dwordx3 \base \src \src2 \md0 \md1 \md2
.endm

.macro _global_store_b128 base src src2 md0 md1 md2
    global_store_dwordx4 \base \src \src2 \md0 \md1 \md2
.endm

.macro _global_store_d16_b16 base src src2 md0 md1 md2
    global_store_short \base \src \src2 \md0 \md1 \md2
.endm

.macro _global_store_d16_hi_b16 base src src2 md0 md1 md2
    global_store_short_d16_hi \base \src \src2 \md0 \md1 \md2
.endm

.macro _global_store_d16_u8 base src src2 md0 md1 md2
    global_store_ubyte_d16 \base \src \src2 \md0 \md1 \md2
.endm

.macro _global_store_d16_hi_u8 base src src2 md0 md1 md2
    global_store_ubyte_d16_hi \base \src \src2 \md0 \md1 \md2
.endm

.macro _global_store_u16 base src src2 md0 md1 md2
    global_store_ushort \base \src \src2 \md0 \md1 \md2
.endm

.macro _global_atomic_cmpswap_b32 tmp base data src ioffset md
    global_atomic_cmpswap \tmp \base \data \src \ioffset \md
.endm

.macro _global_atomic_cmpswap_b64 tmp base data src ioffset md
    global_atomic_cmpswap_x2 \tmp \base \data \src \ioffset \md
.endm


/******************************************/
/* Magic div and mod functions            */
/******************************************/
.macro V_MAGIC_DIV dstIdx:req, dividend:req, magicNumber:req, magicShift:req, magicA:req
    v_mul_hi_u32 v[\dstIdx+1], \dividend, \magicNumber
    v_mul_lo_u32 v[\dstIdx+0], \dividend, \magicA
    _v_add_u32 v[\dstIdx+0], v[\dstIdx+0], v[\dstIdx+1]
    v_lshrrev_b32 v[\dstIdx+0], \magicShift, v[\dstIdx+0]
.endm

/******************************************/
/* VGPR Assignments                       */
/******************************************/
/* ValuC range: [0-0), serializedStore enabled */
.set vgprValuC, 0
/* ValuA/B   Xn=PLR buffer idx,  In=InnerUnroll idx */
.set vgprValuA_X0_I0, 0
.set vgprValuA_X1_I0, 8
.set vgprValuA_X2_I0, 16
.set vgprValuA_X3_I0, 24
.set vgprG2LA, 126
.set vgprValuB_X0_I0, 32
.set vgprValuB_X1_I0, 48
.set vgprValuB_X2_I0, 64
.set vgprValuB_X3_I0, 80
.set vgprG2LB, 158
.set vgprLocalWriteAddrA, 96
.set vgprLocalWriteAddrB, 97
.set vgprGlobalReadAddrA, 98
.set vgprGlobalReadAddrB, 114
.set vgprGlobalReadIncsA, 122
.set vgprGlobalReadIncsB, 124
.set vgprLocalReadAddrA, 174
.set vgprLocalReadAddrB, 175
.set vgprSerial, 176
/* Num VGPR=256 */
/* Num AccVGPR=256 */

/******************************************/
/* SGPR Assignments                       */
/******************************************/
.set sgprKernArgAddress, 0 // (2)
.set sgprWorkGroup0, 2 // (1)
.set sgprWorkGroup1, 3 // (1)
.set sgprWorkGroup2, 4 // (1)
.set sgprGSUSumIdx, 5 // (2)
.set sgprLoopCounterL, 7 // (1)
.set sgprOrigLoopCounter, 8 // (1)
.set sgprSrdD, 12 // (4)
.set sgprSrdC, 16 // (4)
.set sgprTensor2dSizeA, 20 // (2)
.set sgprTensor2dSizeB, 22 // (2)
.set sgprAddressD, 24 // (2)
.set sgprAddressC, 26 // (2)
.set sgprAddressA, 28 // (2)
.set sgprAddressB, 30 // (2)
.set sgprAlpha, 32 // (2)
.set sgprBeta, 34 // (2)
.set sgprStridesD, 36 // (2)
.set sgprStridesC, 38 // (2)
.set sgprStridesA, 40 // (2)
.set sgprStridesB, 42 // (2)
.set sgprSizesFree, 44 // (3)
.set sgprSizesSum, 47 // (1)
.set sgprNumWorkGroups0, 48 // (1)
.set sgprNumWorkGroups1, 49 // (1)
.set sgprNumFullBlocks, 50 // (1)
.set sgprWgmRemainder1, 51 // (1)
.set sgprMagicNumberWgmRemainder1, 52 // (1)
/* max SGPR=62 */

/* Size Assignments */
.set sgprSizeI, sgprSizesFree+0
.set sgprSizeJ, sgprSizesFree+1
.set sgprSizeK, sgprSizesFree+2
.set sgprSizeL, sgprSizesSum+0

/* Stride Assignments */
.set constStrideD0I, 1
.set sgprStrideD1J, sgprStridesD+0
.set sgprStrideDK, sgprStridesD+1
.set constStrideC0I, 1
.set sgprStrideC1J, sgprStridesC+0
.set sgprStrideCK, sgprStridesC+1
.set constStrideAL, 1
.set sgprStrideA0I, sgprStridesA+0
.set sgprStrideAK, sgprStridesA+1
.set constStrideBL, 1
.set sgprStrideB1J, sgprStridesB+0
.set sgprStrideBK, sgprStridesB+1

.set MT0, 256
.set MT1, 128
.set DepthU, 16
.set GSU, 875
.set BpeA, 8
.set BpeALog2, 3
.set BpeB, 8
.set BpeBLog2, 3
/* Number of elements to shift-left SRD */
.set SrdShiftLeftA, 2
.set SrdShiftLeftB, 2
/* 2GB limit - set offsets to -1 to exceed this and clamp */
.set BufferLimitA, 0xffffffff
.set BufferLimitB, 0xffffffff
.set BufferOOB, 0xfffff000

/******************************************/
/* Bits 127:96 of SRD.                    */
/* hex: 0x00020000                        */
/* dst_sel_x (3b): 0                      */
/* dst_sel_y (3b): 0                      */
/* dst_sel_z (3b): 0                      */
/* dst_sel_w (3b): 0                      */
/* num_format (3b): 0                     */
/* data_format (4b): 4                    */
/* user_vm_enable (1b): 0                 */
/* user_vm_mode (1b): 0                   */
/* index_stride (2b): 0                   */
/* add_tid_enable (1b): 0                 */
/* _unusedA (3b): 0                       */
/* nv (1b): 0                             */
/* _unusedB (2b): 0                       */
/* type (2b): 0                           */
/******************************************/
.set Srd127_96, 0x00020000

/* Global Offset A */
.macro GLOBAL_OFFSET_A vgprAddr:req vgprOffsetL:req vgprOffset0I:req sgprOffsetK:req vgprTmp:req
v_mul_lo_u32 v[\vgprTmp+0], s[sgprStrideA0I], v[\vgprOffset0I] // mul d1 lower
v_mul_hi_u32 v[\vgprTmp+1], s[sgprStrideA0I], v[\vgprOffset0I] // mul d1 upper
_v_add_co_u32 v[\vgprAddr+0], vcc, v[\vgprOffsetL], v[\vgprTmp+0] // accumulate K lower
_v_addc_co_u32 v[\vgprAddr+1], vcc, v[\vgprTmp+1], 0, vcc // accumulate K upper
v_mov_b32 v[\vgprTmp+2], s[\sgprOffsetK]           // sgprOffset -> vgprTmp+2
v_mul_lo_u32 v[\vgprTmp+0], s[sgprStrideAK], v[\vgprTmp+2] // other stride mul d2 lower
v_mul_hi_u32 v[\vgprTmp+1], s[sgprStrideAK], v[\vgprTmp+2] // mul d2 upper
_v_add_co_u32 v[\vgprAddr+0], vcc, v[\vgprAddr+0], v[\vgprTmp+0] // accumulate K lower
_v_addc_co_u32 v[\vgprAddr+1], vcc, v[\vgprTmp+1], v[\vgprAddr+1], vcc // accumulate K upper
v_lshlrev_b64 v[\vgprAddr+0:\vgprAddr+1], 0x3, v[\vgprAddr+0:\vgprAddr+1] // offset *= bytes/element
.endm

/* Global Offset B */
.macro GLOBAL_OFFSET_B vgprAddr:req vgprOffsetL:req vgprOffset1J:req sgprOffsetK:req vgprTmp:req
v_mul_lo_u32 v[\vgprTmp+0], s[sgprStrideB1J], v[\vgprOffset1J] // mul d1 lower
v_mul_hi_u32 v[\vgprTmp+1], s[sgprStrideB1J], v[\vgprOffset1J] // mul d1 upper
_v_add_co_u32 v[\vgprAddr+0], vcc, v[\vgprOffsetL], v[\vgprTmp+0] // accumulate K lower
_v_addc_co_u32 v[\vgprAddr+1], vcc, v[\vgprTmp+1], 0, vcc // accumulate K upper
v_mov_b32 v[\vgprTmp+2], s[\sgprOffsetK]           // sgprOffset -> vgprTmp+2
v_mul_lo_u32 v[\vgprTmp+0], s[sgprStrideBK], v[\vgprTmp+2] // other stride mul d2 lower
v_mul_hi_u32 v[\vgprTmp+1], s[sgprStrideBK], v[\vgprTmp+2] // mul d2 upper
_v_add_co_u32 v[\vgprAddr+0], vcc, v[\vgprAddr+0], v[\vgprTmp+0] // accumulate K lower
_v_addc_co_u32 v[\vgprAddr+1], vcc, v[\vgprTmp+1], v[\vgprAddr+1], vcc // accumulate K upper
v_lshlrev_b64 v[\vgprAddr+0:\vgprAddr+1], 0x3, v[\vgprAddr+0:\vgprAddr+1] // offset *= bytes/element
.endm

/******************************************/
/* Dynamic Scalar Divide: vQuotient=vDividend/vDivisor; vRemainder=vDividend%vDivisor; */
/******************************************/
.macro DYNAMIC_VECTOR_DIVIDE vQuotient vRemainder vDividend vDivisor vTmp0 vTmp1 sTmp
v_cvt_f32_u32 v[\vQuotient], v[\vDivisor]          // 
v_rcp_f32 v[\vQuotient], v[\vQuotient]             // 
v_mul_f32 v[\vQuotient], 0x4f800000, v[\vQuotient] // 
v_cvt_u32_f32 v[\vQuotient], v[\vQuotient]         // 
v_mul_lo_u32 v[\vRemainder], v[\vDivisor], v[\vQuotient] // 
v_mul_hi_u32 v[\vTmp0], v[\vDivisor], v[\vQuotient] // 
_v_sub_co_u32 v[\vTmp1], vcc, 0x0, v[\vRemainder]  // 
v_cmp_ne_i32 s[\sTmp:\sTmp+1], 0x0, v[\vTmp0]      // 
v_cndmask_b32 v[\vRemainder], v[\vTmp1], v[\vRemainder], s[\sTmp:\sTmp+1] // 
v_mul_hi_u32 v[\vRemainder], v[\vRemainder], v[\vQuotient] // 
_v_sub_co_u32 v[\vTmp0], vcc, v[\vQuotient], v[\vRemainder] // 
_v_add_co_u32 v[\vQuotient], vcc, v[\vQuotient], v[\vRemainder] // 
v_cndmask_b32 v[\vQuotient], v[\vQuotient], v[\vTmp0], s[\sTmp:\sTmp+1] // 
v_mul_hi_u32 v[\vQuotient], v[\vQuotient], v[\vDividend] // 
v_mul_lo_u32 v[\vRemainder], v[\vQuotient], v[\vDivisor] // 
_v_sub_co_u32 v[\vTmp0], vcc, v[\vDividend], v[\vRemainder] // 
v_cmp_ge_u32 s[\sTmp:\sTmp+1], v[\vDividend], v[\vRemainder] // 
_v_add_co_u32 v[\vRemainder], vcc, 0x1, v[\vQuotient] // 
_v_add_co_u32 v[\vTmp1], vcc, -1, v[\vQuotient]    // 
v_cmp_le_u32 vcc, v[\vDivisor], v[\vTmp0]          // 
s_and_b64 vcc, s[\sTmp:\sTmp+1], vcc               // 
v_cndmask_b32 v[\vQuotient], v[\vQuotient], v[\vRemainder], vcc // 
v_cndmask_b32 v[\vQuotient], v[\vTmp1], v[\vQuotient], s[\sTmp:\sTmp+1] // 
v_cmp_ne_i32 vcc, 0x0, v[\vDivisor]                // 
v_cndmask_b32 v[\vQuotient], -1, v[\vQuotient], vcc // final result
v_mul_lo_u32 v[\vRemainder], v[\vQuotient], v[\vDivisor] // 
_v_sub_co_u32 v[\vRemainder], vcc, v[\vDividend], v[\vRemainder] // final result
.endm


	;; [unrolled: 1-line block ×3, first 2 shown]
/******************************************/
/* Allocate Resources                     */
/******************************************/

Cijk_Alik_Bljk_DB_MT256x128x16_MI16x16x4x1_SN_1LDSB1_APM1_AF0EM2_AF1EM2_AMAS3_ASGT332_ASLT_ASAE01_ASCE01_ASEM1_BL0_BS1_CLR0_DTLA0_DTLB0_DTVA0_DVO0_EPS0_FL0_GLVWA2_GLVWB2_GRVW2_GSU875_GSUASB_GLS0_ISA90a_IU1_K1_KLA_LBSPPA0_LBSPPB0_LPA2_LPB2_LDL1_LRVW2_LDW0_FMA_MIAV0_MMFGLC_NTA0_NTB0_NTC3_NTD3_NEPBS2_NLCA1_NLCB1_ONLL1_OPLV0_PK0_PAP0_PGR2_PLR5_SIA3_SS1_SU0_SUM0_SUS0_SCIUI1_SPO1_SRVW0_SSO2_SVW2_SNLL0_TT4_128_TLDS1_UMLDSA1_UMLDSB1_USFGROn1_VAW1_VSn1_VW2_VWB1_VFLRP0_WSGRA0_WSGRB0_WG64_4_1_WGM7_preloaded: // Kernel start when preloading
s_setprio 3                                        // optimization store

/* Load Kernel Args */
_s_load_b512 s[20:35], s[sgprKernArgAddress:sgprKernArgAddress+1], 0x0 // 
_s_load_b512 s[36:51], s[sgprKernArgAddress:sgprKernArgAddress+1], 0x40 // 
_s_load_b32 s52, s[sgprKernArgAddress:sgprKernArgAddress+1], 0x80 // 
s_mov_b32 m0, 0xd800                               // LDS clamp at 55296 bytes
v_mov_b32 v[vgprSerial], v0                        // thread serial id

/******************************************/
/* Local Read Addresses                   */
/******************************************/


/* local read addresses: tile assignments a/b */

/*lr0I*/
v_and_b32 v1, 63, v[vgprSerial]                    // 0. thread id in wave: wtid = tid % wavelength(64)
v_and_b32 v0, 15, v1                               // 1. N offset: nIdx = wtid % MI_N(16)
s_mov_b32 s9, 0x12                                 // 1. N offset: nOffset = nIdx * nStride(18)
v_mul_lo_u32 v0, s9, v0                            // 1. N offset: nOffset = nIdx * nStride(18)
                                                   // 2. block offset: bnIdx = bnIdx % num1DBlocks(1) is 0. do nothing
v_lshlrev_b32 v0, 0x1, v0                          // 4. apply VectorWidth: bnOffset = bnOffset * vw(2)
v_lshrrev_b32 v1, 4, v1                            // 5. K offset: kIdx = wtid / (MIN(16) * MIBB(1))
v_lshlrev_b32 v1, 0x1, v1                          // 5. K offset: lrKOffset = kIdx * mStride(2)
_v_add_u32 v0, v1, v0                              // 6. offset in wave: lrOffset = bnOffset + lrKOffset
v_lshrrev_b32 v2, 6, v[vgprSerial]                 // 7. wave offset in N dimen: wtid = tid / dividedForWaveId(64)
v_and_b32 v1, 3, v2                                // 7. wave offset in M dimen: wtid0 = wtid / num1DWaves(4)
s_mov_b32 s9, 0x240                                // 7. wave offset in M dimen: wOffset = wtid0 * W0Stride(576)
v_mul_lo_u32 v1, s9, v1                            // 7. wave offset in M dimen: wOffset = wtid0 * W0Stride(576)
_v_add_u32 v0, v1, v0                              // 8. final local read offset: flrOffset = lrOffset + WOffset
/*lr1J*/
v_and_b32 v2, 63, v[vgprSerial]                    // 0. thread id in wave: wtid = tid % wavelength(64)
v_and_b32 v1, 15, v2                               // 1. N offset: nIdx = wtid % MI_N(16)
s_mov_b32 s9, 0x12                                 // 1. N offset: nOffset = nIdx * nStride(18)
v_mul_lo_u32 v1, s9, v1                            // 1. N offset: nOffset = nIdx * nStride(18)
                                                   // 2. block offset: bnIdx = bnIdx % num1DBlocks(1) is 0. do nothing
                                                   // 4. apply VectorWidth: bnOffset = bnOffset * vw(1) (multiplier is 1, do nothing)
v_lshrrev_b32 v2, 4, v2                            // 5. K offset: kIdx = wtid / (MIN(16) * MIBB(1))
v_lshlrev_b32 v2, 0x1, v2                          // 5. K offset: lrKOffset = kIdx * mStride(2)
_v_add_u32 v1, v2, v1                              // 6. offset in wave: lrOffset = bnOffset + lrKOffset


/* local read addresses: final offsets a */

v_lshlrev_b32 v[vgprLocalReadAddrA], 0x3, v0       // Final Offset: offset = (lro0)*bpe


/* local read addresses: final offsets b */

v_lshlrev_b32 v[vgprLocalReadAddrB], 0x3, v1       // Final Offset: offset = (lro1)*bpe


/* local read addresses: declare addresses a */

/* N/A */


/* local read addresses: declare addresses b */

_v_add_co_u32 v[vgprLocalReadAddrB+0], vcc, 0x9000, v[vgprLocalReadAddrB+0] //  += LdsOffsetB (lower)
s_waitcnt lgkmcnt(0)                               // wait for 132 bytes of kern args
s_mov_b64 s[sgprSrdC+0:sgprSrdC+0+1], s[sgprAddressC+0:sgprAddressC+0+1] // copy addressC
s_mov_b64 s[sgprSrdD+0:sgprSrdD+0+1], s[sgprAddressD+0:sgprAddressD+0+1] // copy addressD

.set AddressD, UNDEF
.set AddressC, UNDEF

/* Short circuit condition if Alpha == 0, then sumDims=0 */
v_cmp_eq_f64 vcc, s[sgprAlpha:sgprAlpha+1], 0.0    // Alpha == 0.0 ?
s_cbranch_vccz label_AlphaNonZero                  // branch if Alpha != 0
s_mov_b32 s[sgprSizesSum+0], 0x0                   // Set summation dim=0 if Alpha == 0
label_AlphaNonZero:


	;; [unrolled: 1-line block ×3, first 2 shown]
/******************************************/
/* Begin setupNewTile, isPap=False           */
/******************************************/


/* global read addresses: work-group */

/* graWorkGroup mapping */
// GSU-not-WGMapRR :nwg1 = (size1J + MT1J - 1) / MT1J;
s_mov_b32 s26, s[sgprWorkGroup1]                   // copying for divisor
s_mov_b32 s25, 0x0                                 // STATIC_DIV: divisior=875
s_mul_i32 s24, 0x95, s26                           // tmp1 = dividend * magic hi
s_lshl_b64 s[24:25], s[24:25], 0x10                // left shift 16 bits
s_mul_i32 s[sgprWorkGroup1], s26, 0xcbed           // tmp0 = dividend * magic lo
s_add_u32 s24, s[sgprWorkGroup1], s24              // add lo
s_addc_u32 s25, s25, 0x0                           // add hi
s_lshr_b64 s[24:25], s[24:25], 0x21                // tmp1 = (dividend * magic) << shift
s_mov_b32 s[sgprWorkGroup1], s24                   // quotient
s_mul_i32 s24, s[sgprWorkGroup1], 0x36b            // quotient*divisor
s_sub_u32 s[sgprGSUSumIdx], s26, s24               // rReg = dividend - quotient*divisor
s_mov_b32 s27, 0x12492493L                         // magic number for WGM==7
s_mul_hi_u32 s25, s[sgprWorkGroup1], s27           // s_magic mul
s_mul_i32 s24, s[sgprWorkGroup1], s27              // s_magic mul
s_lshr_b64 s[24:25], s[24:25], 31                  // sMagicDiv
s_mul_i32 s25, s24, 7                              // quotient * non-magic divisor
s_sub_u32 s25, s[sgprWorkGroup1], s25              // WorkGroup1=remainder
s_mul_i32 s25, s25, s[sgprNumWorkGroups0]          // (wg1 % WGM)*nwg0
s_add_u32 s25, s25, s[sgprWorkGroup0]              // wgSerial = wg0 + (wg1 % WGM)*nwg1
s_cmp_ge_u32 s24, s[sgprNumFullBlocks]             // blockId >= numFullBlocks ?
s_cmov_b32 s27, s[sgprMagicNumberWgmRemainder1]    // 
s_cselect_b32 s26, s[sgprWgmRemainder1], 7         // 
s_mul_hi_u32 s3, s25, s27                          // s_magic mul
s_mul_i32 s2, s25, s27                             // s_magic mul
s_lshr_b64 s[2:3], s[2:3], 31                      // sMagicDiv
s_mul_i32 s[sgprWorkGroup1], s[sgprWorkGroup0], s26 // quotient * non-magic divisor
s_sub_u32 s[sgprWorkGroup1], s25, s[sgprWorkGroup1] // WorkGroup1=remainder
s_mul_i32 s24, s24, 7                              // blockId * WGM
s_add_u32 s[sgprWorkGroup1], s[sgprWorkGroup1], s24 // wg1 += blockId * WGM


/* global read addresses: tile offset assignment a */

/* LVCA = 8 */
/* v2 = groA-tile = serial/LVCA + (wgA*MTA) */
/* v1 = groA-unroll = serial%LVCA */
v_lshrrev_b32 v0, 3, v[vgprSerial]                 // v0 = v[vgprSerial] / 8
v_and_b32 v1, 7, v[vgprSerial]                     // v1 = v[vgprSerial] % 8
/* gro-unroll *= glvw */
v_lshlrev_b32 v1, 0x1, v1                          // v1 = v1 * 2
v_lshlrev_b32 v3, 0x8, s[sgprWorkGroup0]           // v3 = s[sgprWorkGroup0] * 256
_v_add_co_u32 v2, vcc, v3, v0                      // groA-tile = serial/LVCA*VW + (wgA*MTA)
v_mov_b32 v3, v1                                   // copy for GlobalSplitU


/* global read addresses: tile offset assignment b */

/* LVCB = 8 */
/* v6 = groB-tile = serial/LVCB + (wgB*MTB) */
/* v5 = groB-unroll = serial%LVCB */
v_lshrrev_b32 v4, 3, v[vgprSerial]                 // v4 = v[vgprSerial] / 8
v_and_b32 v5, 7, v[vgprSerial]                     // v5 = v[vgprSerial] % 8
/* gro-unroll *= glvw */
v_lshlrev_b32 v5, 0x1, v5                          // v5 = v5 * 2
v_lshlrev_b32 v7, 0x7, s[sgprWorkGroup1]           // v7 = s[sgprWorkGroup1] * 128
_v_add_co_u32 v6, vcc, v7, v4                      // groB-tile = serial/LVCB*VW + (wgB*MTB)
v_mov_b32 v7, v5                                   // copy for GlobalSplitU


/* global read addresses: unroll assignment a */

v_mov_b32 v8, s[sgprGSUSumIdx]                     // =gsuSumIdx
v_lshlrev_b32 v8, 0x4, v8                          // v8 = v8 * 16
_v_add_co_u32 v1, vcc, v8, v1                      // graUnrollAssignment += gsuOffset


/* global read addresses: unroll assignment b */

v_mov_b32 v8, s[sgprGSUSumIdx]                     // =gsuSumIdx
v_lshlrev_b32 v8, 0x4, v8                          // v8 = v8 * 16
_v_add_co_u32 v5, vcc, v8, v5                      // graUnrollAssignment += gsuOffset


/* global read addresses: other free assignments */

/* s[sgprWorkGroup2] */


/* global read addresses: tile offsets a */

v_mov_b32 v8, v2                                   // groA0I_0
_v_add_co_u32 v9, vcc, 32, v8                      // groA0I_1 += LSPA
_v_add_co_u32 v10, vcc, 32, v9                     // groA0I_2 += LSPA
_v_add_co_u32 v11, vcc, 32, v10                    // groA0I_3 += LSPA
_v_add_co_u32 v12, vcc, 32, v11                    // groA0I_4 += LSPA
_v_add_co_u32 v13, vcc, 32, v12                    // groA0I_5 += LSPA
_v_add_co_u32 v14, vcc, 32, v13                    // groA0I_6 += LSPA
_v_add_co_u32 v15, vcc, 32, v14                    // groA0I_7 += LSPA


/* global read addresses: tile offsets b */

v_mov_b32 v16, v6                                  // groB1J_0
_v_add_co_u32 v17, vcc, 32, v16                    // groB1J_1 += LSPB
_v_add_co_u32 v18, vcc, 32, v17                    // groB1J_2 += LSPB
_v_add_co_u32 v19, vcc, 32, v18                    // groB1J_3 += LSPB


/* global read addresses: unroll offsets a */

v_mov_b32 v2, v1                                   // groAL_0


/* global read addresses: unroll offsets b */

v_mov_b32 v6, v5                                   // groBL_0


/* global read addresses: shift a */

s_sub_u32 s0, s[sgprSizeI], 1                      // edge = Size0I-1
v_mov_b32 v20, s0                                  // edge vgpr = Size0I-1
v_cmp_lt_u32 s[0:1], v8, v20                       // shiftedOffset < shiftedEdge
v_cndmask_b32 v8, v20, v8, s[0:1]                  // offset = (offset < edge) ? offset(v8) : edge(v20)
v_cmp_lt_u32 s[0:1], v9, v20                       // shiftedOffset < shiftedEdge
v_cndmask_b32 v9, v20, v9, s[0:1]                  // offset = (offset < edge) ? offset(v9) : edge(v20)
v_cmp_lt_u32 s[0:1], v10, v20                      // shiftedOffset < shiftedEdge
v_cndmask_b32 v10, v20, v10, s[0:1]                // offset = (offset < edge) ? offset(v10) : edge(v20)
v_cmp_lt_u32 s[0:1], v11, v20                      // shiftedOffset < shiftedEdge
v_cndmask_b32 v11, v20, v11, s[0:1]                // offset = (offset < edge) ? offset(v11) : edge(v20)
	;; [unrolled: 2-line block ×6, first 2 shown]


/* global read addresses: shift b */

s_sub_u32 s0, s[sgprSizeJ], 1                      // edge = Size1J-1
v_mov_b32 v20, s0                                  // edge vgpr = Size1J-1
v_cmp_lt_u32 s[0:1], v16, v20                      // shiftedOffset < shiftedEdge
v_cndmask_b32 v16, v20, v16, s[0:1]                // offset = (offset < edge) ? offset(v16) : edge(v20)
v_cmp_lt_u32 s[0:1], v17, v20                      // shiftedOffset < shiftedEdge
v_cndmask_b32 v17, v20, v17, s[0:1]                // offset = (offset < edge) ? offset(v17) : edge(v20)
	;; [unrolled: 2-line block ×4, first 2 shown]


/* global read addresses: final offsets a */

GLOBAL_OFFSET_A vgprGlobalReadAddrA+0,  2,  8, sgprWorkGroup2, 20 // gROA_0_0_0_0
GLOBAL_OFFSET_A vgprGlobalReadAddrA+2,  2,  9, sgprWorkGroup2, 20 // gROA_0_0_1_0
GLOBAL_OFFSET_A vgprGlobalReadAddrA+4,  2, 10, sgprWorkGroup2, 20 // gROA_0_0_2_0
GLOBAL_OFFSET_A vgprGlobalReadAddrA+6,  2, 11, sgprWorkGroup2, 20 // gROA_0_0_3_0
GLOBAL_OFFSET_A vgprGlobalReadAddrA+8,  2, 12, sgprWorkGroup2, 20 // gROA_0_0_4_0
GLOBAL_OFFSET_A vgprGlobalReadAddrA+10,  2, 13, sgprWorkGroup2, 20 // gROA_0_0_5_0
GLOBAL_OFFSET_A vgprGlobalReadAddrA+12,  2, 14, sgprWorkGroup2, 20 // gROA_0_0_6_0
GLOBAL_OFFSET_A vgprGlobalReadAddrA+14,  2, 15, sgprWorkGroup2, 20 // gROA_0_0_7_0


/* global read addresses: final offsets b */

GLOBAL_OFFSET_B vgprGlobalReadAddrB+0,  6, 16, sgprWorkGroup2, 8 // gROB_0_0_0_0
GLOBAL_OFFSET_B vgprGlobalReadAddrB+2,  6, 17, sgprWorkGroup2, 8 // gROB_0_0_1_0
GLOBAL_OFFSET_B vgprGlobalReadAddrB+4,  6, 18, sgprWorkGroup2, 8 // gROB_0_0_2_0
GLOBAL_OFFSET_B vgprGlobalReadAddrB+6,  6, 19, sgprWorkGroup2, 8 // gROB_0_0_3_0


/* global read addresses: addresses a */

v_mov_b32 v8, s[sgprAddressA+0]                    // 
v_mov_b32 v9, s[sgprAddressA+1]                    // 
_v_add_co_u32 v[vgprGlobalReadAddrA+0+0], vcc, v[vgprGlobalReadAddrA+0+0], v8 // gRAA_0_0_0_0 = addrA+grOA_0_0_0_0 (lower)
_v_addc_co_u32 v[vgprGlobalReadAddrA+0+1], vcc, v[vgprGlobalReadAddrA+0+1], v9, vcc // gRAA_0_0_0_0 = addrA+grOA_0_0_0_0 (upper)
_v_add_co_u32 v[vgprGlobalReadAddrA+2+0], vcc, v[vgprGlobalReadAddrA+2+0], v8 // gRAA_0_0_1_0 = addrA+grOA_0_0_1_0 (lower)
_v_addc_co_u32 v[vgprGlobalReadAddrA+2+1], vcc, v[vgprGlobalReadAddrA+2+1], v9, vcc // gRAA_0_0_1_0 = addrA+grOA_0_0_1_0 (upper)
_v_add_co_u32 v[vgprGlobalReadAddrA+4+0], vcc, v[vgprGlobalReadAddrA+4+0], v8 // gRAA_0_0_2_0 = addrA+grOA_0_0_2_0 (lower)
_v_addc_co_u32 v[vgprGlobalReadAddrA+4+1], vcc, v[vgprGlobalReadAddrA+4+1], v9, vcc // gRAA_0_0_2_0 = addrA+grOA_0_0_2_0 (upper)
_v_add_co_u32 v[vgprGlobalReadAddrA+6+0], vcc, v[vgprGlobalReadAddrA+6+0], v8 // gRAA_0_0_3_0 = addrA+grOA_0_0_3_0 (lower)
_v_addc_co_u32 v[vgprGlobalReadAddrA+6+1], vcc, v[vgprGlobalReadAddrA+6+1], v9, vcc // gRAA_0_0_3_0 = addrA+grOA_0_0_3_0 (upper)
_v_add_co_u32 v[vgprGlobalReadAddrA+8+0], vcc, v[vgprGlobalReadAddrA+8+0], v8 // gRAA_0_0_4_0 = addrA+grOA_0_0_4_0 (lower)
_v_addc_co_u32 v[vgprGlobalReadAddrA+8+1], vcc, v[vgprGlobalReadAddrA+8+1], v9, vcc // gRAA_0_0_4_0 = addrA+grOA_0_0_4_0 (upper)
_v_add_co_u32 v[vgprGlobalReadAddrA+10+0], vcc, v[vgprGlobalReadAddrA+10+0], v8 // gRAA_0_0_5_0 = addrA+grOA_0_0_5_0 (lower)
_v_addc_co_u32 v[vgprGlobalReadAddrA+10+1], vcc, v[vgprGlobalReadAddrA+10+1], v9, vcc // gRAA_0_0_5_0 = addrA+grOA_0_0_5_0 (upper)
_v_add_co_u32 v[vgprGlobalReadAddrA+12+0], vcc, v[vgprGlobalReadAddrA+12+0], v8 // gRAA_0_0_6_0 = addrA+grOA_0_0_6_0 (lower)
_v_addc_co_u32 v[vgprGlobalReadAddrA+12+1], vcc, v[vgprGlobalReadAddrA+12+1], v9, vcc // gRAA_0_0_6_0 = addrA+grOA_0_0_6_0 (upper)
_v_add_co_u32 v[vgprGlobalReadAddrA+14+0], vcc, v[vgprGlobalReadAddrA+14+0], v8 // gRAA_0_0_7_0 = addrA+grOA_0_0_7_0 (lower)
_v_addc_co_u32 v[vgprGlobalReadAddrA+14+1], vcc, v[vgprGlobalReadAddrA+14+1], v9, vcc // gRAA_0_0_7_0 = addrA+grOA_0_0_7_0 (upper)


/* global read addresses: addresses b */

v_mov_b32 v8, s[sgprAddressB+0]                    // 
v_mov_b32 v9, s[sgprAddressB+1]                    // 
_v_add_co_u32 v[vgprGlobalReadAddrB+0+0], vcc, v[vgprGlobalReadAddrB+0+0], v8 // gRAB_0_0_0_0 = addrB+grOB_0_0_0_0 (lower)
_v_addc_co_u32 v[vgprGlobalReadAddrB+0+1], vcc, v[vgprGlobalReadAddrB+0+1], v9, vcc // gRAB_0_0_0_0 = addrB+grOB_0_0_0_0 (upper)
_v_add_co_u32 v[vgprGlobalReadAddrB+2+0], vcc, v[vgprGlobalReadAddrB+2+0], v8 // gRAB_0_0_1_0 = addrB+grOB_0_0_1_0 (lower)
_v_addc_co_u32 v[vgprGlobalReadAddrB+2+1], vcc, v[vgprGlobalReadAddrB+2+1], v9, vcc // gRAB_0_0_1_0 = addrB+grOB_0_0_1_0 (upper)
_v_add_co_u32 v[vgprGlobalReadAddrB+4+0], vcc, v[vgprGlobalReadAddrB+4+0], v8 // gRAB_0_0_2_0 = addrB+grOB_0_0_2_0 (lower)
_v_addc_co_u32 v[vgprGlobalReadAddrB+4+1], vcc, v[vgprGlobalReadAddrB+4+1], v9, vcc // gRAB_0_0_2_0 = addrB+grOB_0_0_2_0 (upper)
_v_add_co_u32 v[vgprGlobalReadAddrB+6+0], vcc, v[vgprGlobalReadAddrB+6+0], v8 // gRAB_0_0_3_0 = addrB+grOB_0_0_3_0 (lower)
_v_addc_co_u32 v[vgprGlobalReadAddrB+6+1], vcc, v[vgprGlobalReadAddrB+6+1], v9, vcc // gRAB_0_0_3_0 = addrB+grOB_0_0_3_0 (upper)


/* global read addresses: increments a */

s_mul_i32 s0, DepthU*7000, constStrideAL           // incrAL = constStrideAL*DepthU*bpe (unrollIdx)
s_mov_b32 s1, 0x0                                  // (carry)
v_mov_b32 v[vgprGlobalReadIncsA+0+0], s0           // 
v_mov_b32 v[vgprGlobalReadIncsA+0+1], s1           // 


/* global read addresses: increments b */

s_mul_i32 s0, DepthU*7000, constStrideBL           // incrBL = constStrideBL*DepthU*bpe (unrollIdx)
s_mov_b32 s1, 0x0                                  // (carry)
v_mov_b32 v[vgprGlobalReadIncsB+0+0], s0           // 
v_mov_b32 v[vgprGlobalReadIncsB+0+1], s1           // 


/******************************************/
/* Local Write Addresses                  */
/******************************************/

/* lwaTileAssignmentA = v0 */

/* lwaTileAssignmentB = v4 */

/* lwaUnrollAssignmentA = v3 */

/* lwaUnrollAssignmentB = v7 */


/* local write addresses: first offset a */

v_mul_u32_u24 v[vgprLocalWriteAddrA], 0x12, v0     // lwAL**(DepthU_Compute + PAD)
_v_add_lshl_u32 v[vgprLocalWriteAddrA], v3, v[vgprLocalWriteAddrA], 0x3 // lwFOA = (lwAA + lwAL*(DepthU+PAD))*bpe


/* local write addresses: first offset b */

v_mul_u32_u24 v[vgprLocalWriteAddrB], 0x12, v4     // lwBL**(DepthU_Compute + PAD)
_v_add_lshl_u32 v[vgprLocalWriteAddrB], v7, v[vgprLocalWriteAddrB], 0x3 // lwFOB = (lwBB + lwBL*(DepthU+PAD))*bpe
_v_add_co_u32 v[vgprLocalWriteAddrB], vcc, 0x9000, v[vgprLocalWriteAddrB] // lwFOB = lwB1J + lwBL*MT1J + LDS_OFFSET_B=4608*8


	;; [unrolled: 1-line block ×7, first 2 shown]
/* declare loop num iterations */


s_lshr_b32 s[sgprLoopCounterL], s[sgprSizesSum+0], 4 // s[sgprLoopCounterL] = s[sgprSizesSum+0] / 16
v_mov_b32 v2, s[sgprLoopCounterL]                  // copy for divide IterGsu
s_mov_b32 s24, 0x95cbed                            // v0 = v2 / 875
v_mul_hi_u32 v0, v2, s24                           // v0 = v2 / 875
v_lshrrev_b32 v0, 0x1, v0                          // v0 = v2 / 875
s_mov_b32 s24, 0x36b                               // v1 = v2 % 875
v_mul_lo_u32 v1, v0, s24                           // v1 = v2 % 875
_v_sub_u32 v1, v2, v1                              // v1 = v2 % 875
v_readfirstlane_b32 s[sgprLoopCounterL], v0        // 
v_readfirstlane_b32 s[sgprGSUSumIdx+1], v1         // 
s_add_u32 s24, 1, s[sgprLoopCounterL]              // tmp<-numIterMyWg+
s_cmp_lt_u32 s[sgprGSUSumIdx], s[sgprGSUSumIdx+1]  // gsuSumIdx < numIterPerWgRemainder
s_cmov_b32 s[sgprLoopCounterL], s24                // numIterMyWg++ if needed
s_mov_b32 s[sgprOrigLoopCounter], s[sgprLoopCounterL] // copy loop counter

/* local read addresses: init pointers a */


/* localReadInitPointers */

/* local read addresses: init pointers b */


/* localReadInitPointers */


/* prefetch: global -> local */

s_cmp_eq_u32 s[sgprLoopCounterL], 0                // at last iteration?
s_setprio 0                                        // optimization store
s_cbranch_scc1 ShadowInitStart_10                  // skip to ShadowInitStart iter b/c numIter==0


_global_load_b128 v[vgprG2LA+0:vgprG2LA+0+3], v[vgprGlobalReadAddrA+0:vgprGlobalReadAddrA+0+1], off, offset:0 // G -> Reg 0_0_0_0
_global_load_b128 v[vgprG2LA+4:vgprG2LA+4+3], v[vgprGlobalReadAddrA+2:vgprGlobalReadAddrA+2+1], off, offset:0 // G -> Reg 0_0_1_0
_global_load_b128 v[vgprG2LA+8:vgprG2LA+8+3], v[vgprGlobalReadAddrA+4:vgprGlobalReadAddrA+4+1], off, offset:0 // G -> Reg 0_0_2_0
_global_load_b128 v[vgprG2LA+12:vgprG2LA+12+3], v[vgprGlobalReadAddrA+6:vgprGlobalReadAddrA+6+1], off, offset:0 // G -> Reg 0_0_3_0
_global_load_b128 v[vgprG2LA+16:vgprG2LA+16+3], v[vgprGlobalReadAddrA+8:vgprGlobalReadAddrA+8+1], off, offset:0 // G -> Reg 0_0_4_0
_global_load_b128 v[vgprG2LA+20:vgprG2LA+20+3], v[vgprGlobalReadAddrA+10:vgprGlobalReadAddrA+10+1], off, offset:0 // G -> Reg 0_0_5_0
_global_load_b128 v[vgprG2LA+24:vgprG2LA+24+3], v[vgprGlobalReadAddrA+12:vgprGlobalReadAddrA+12+1], off, offset:0 // G -> Reg 0_0_6_0
_global_load_b128 v[vgprG2LA+28:vgprG2LA+28+3], v[vgprGlobalReadAddrA+14:vgprGlobalReadAddrA+14+1], off, offset:0 // G -> Reg 0_0_7_0


_global_load_b128 v[vgprG2LB+0:vgprG2LB+0+3], v[vgprGlobalReadAddrB+0:vgprGlobalReadAddrB+0+1], off, offset:0 // G -> Reg 0_0_0_0
_global_load_b128 v[vgprG2LB+4:vgprG2LB+4+3], v[vgprGlobalReadAddrB+2:vgprGlobalReadAddrB+2+1], off, offset:0 // G -> Reg 0_0_1_0
_global_load_b128 v[vgprG2LB+8:vgprG2LB+8+3], v[vgprGlobalReadAddrB+4:vgprGlobalReadAddrB+4+1], off, offset:0 // G -> Reg 0_0_2_0
_global_load_b128 v[vgprG2LB+12:vgprG2LB+12+3], v[vgprGlobalReadAddrB+6:vgprGlobalReadAddrB+6+1], off, offset:0 // G -> Reg 0_0_3_0


/* global read inc A loopL */
_v_add_co_u32  v[vgprGlobalReadAddrA+0+0], vcc, v[vgprGlobalReadAddrA+0+0], v[vgprGlobalReadIncsA+0+0] // gra += incAL (lower)
_v_addc_co_u32 v[vgprGlobalReadAddrA+0+1], vcc, v[vgprGlobalReadAddrA+0+1], v[vgprGlobalReadIncsA+0+1], vcc // gra += incAL (upper)
_v_add_co_u32  v[vgprGlobalReadAddrA+2+0], vcc, v[vgprGlobalReadAddrA+2+0], v[vgprGlobalReadIncsA+0+0] // gra += incAL (lower)
_v_addc_co_u32 v[vgprGlobalReadAddrA+2+1], vcc, v[vgprGlobalReadAddrA+2+1], v[vgprGlobalReadIncsA+0+1], vcc // gra += incAL (upper)
	;; [unrolled: 2-line block ×8, first 2 shown]

/* global read inc B loopL */
_v_add_co_u32  v[vgprGlobalReadAddrB+0+0], vcc, v[vgprGlobalReadAddrB+0+0], v[vgprGlobalReadIncsB+0+0] // gra += incBL (lower)
_v_addc_co_u32 v[vgprGlobalReadAddrB+0+1], vcc, v[vgprGlobalReadAddrB+0+1], v[vgprGlobalReadIncsB+0+1], vcc // gra += incBL (upper)
_v_add_co_u32  v[vgprGlobalReadAddrB+2+0], vcc, v[vgprGlobalReadAddrB+2+0], v[vgprGlobalReadIncsB+0+0] // gra += incBL (lower)
_v_addc_co_u32 v[vgprGlobalReadAddrB+2+1], vcc, v[vgprGlobalReadAddrB+2+1], v[vgprGlobalReadIncsB+0+1], vcc // gra += incBL (upper)
	;; [unrolled: 2-line block ×4, first 2 shown]


/******************************************/
/* End setupNewTile, isPap=False             */
/******************************************/

ShadowInitStart_10: // 

s_mov_b32 s[sgprSrdD+2], BufferOOB                 // 
s_mov_b32 s[sgprSrdD+3], Srd127_96                 // Set bits 127_96 in post-loop SRD

s_mov_b32 s[sgprSrdC+2], BufferOOB                 // 
s_mov_b32 s[sgprSrdC+3], Srd127_96                 // Set bits 127_96 in post-loop SRD


s_mul_i32 s26, MT1, s[sgprWorkGroup1]              // <- wg1*MT1
s_mul_hi_u32 s25, s26, s[sgprStrideC1J]            // CScale s26 by Stride
s_mul_i32 s24, s26, s[sgprStrideC1J]               // CScale s26 by Stride
s_lshl_b64 s[24:25], s[24:25], 3                   // scale by bpe
s_add_u32 s[sgprSrdC+0], s[sgprSrdC+0], s24        // add lo to SRD
s_addc_u32 s[sgprSrdC+1], s[sgprSrdC+1], s25       // add hi to SRD
s_mul_hi_u32 s25, s26, s[sgprStrideD1J]            // Scale s26 by Stride
s_mul_i32 s24, s26, s[sgprStrideD1J]               // Scale s26 by Stride
s_lshl_b64 s[24:25], s[24:25], 3                   // scale by bpe
s_add_u32 s[sgprSrdD+0], s[sgprSrdD+0], s24        // add lo to SRD
s_addc_u32 s[sgprSrdD+1], s[sgprSrdD+1], s25       // add hi to SRD

s_mul_hi_u32 s25, s[sgprWorkGroup2], s[sgprStrideCK] // CScale s[sgprWorkGroup2] by Stride
s_mul_i32 s24, s[sgprWorkGroup2], s[sgprStrideCK]  // CScale s[sgprWorkGroup2] by Stride
s_lshl_b64 s[24:25], s[24:25], 3                   // scale by bpe
s_add_u32 s[sgprSrdC+0], s[sgprSrdC+0], s24        // add lo to SRD
s_addc_u32 s[sgprSrdC+1], s[sgprSrdC+1], s25       // add hi to SRD
s_mul_hi_u32 s25, s[sgprWorkGroup2], s[sgprStrideDK] // Scale s[sgprWorkGroup2] by Stride
s_mul_i32 s24, s[sgprWorkGroup2], s[sgprStrideDK]  // Scale s[sgprWorkGroup2] by Stride
s_lshl_b64 s[24:25], s[24:25], 3                   // scale by bpe
s_add_u32 s[sgprSrdD+0], s[sgprSrdD+0], s24        // add lo to SRD
s_addc_u32 s[sgprSrdD+1], s[sgprSrdD+1], s25       // add hi to SRD


	;; [unrolled: 1-line block ×3, first 2 shown]
/* initC: remove C-tile 0-0 from pool */

/* initC: remove AB-tile 0-96 from pool */
v_mov_b32 v177, 15728640                           // set out-of-bound addr
_ds_load_b32 acc0, v177, offset:0                  // initC
_ds_load_b32 acc1, v177, offset:0                  // initC
_ds_load_b32 acc2, v177, offset:0                  // initC
_ds_load_b32 acc3, v177, offset:0                  // initC
_ds_load_b32 acc4, v177, offset:0                  // initC
_ds_load_b32 acc5, v177, offset:0                  // initC
_ds_load_b32 acc6, v177, offset:0                  // initC
_ds_load_b32 acc7, v177, offset:0                  // initC
_ds_load_b32 acc8, v177, offset:0                  // initC
_ds_load_b32 acc9, v177, offset:0                  // initC
_ds_load_b32 acc10, v177, offset:0                 // initC
_ds_load_b32 acc11, v177, offset:0                 // initC
_ds_load_b32 acc12, v177, offset:0                 // initC
_ds_load_b32 acc13, v177, offset:0                 // initC
_ds_load_b32 acc14, v177, offset:0                 // initC
_ds_load_b32 acc15, v177, offset:0                 // initC
_ds_load_b32 acc16, v177, offset:0                 // initC
_ds_load_b32 acc17, v177, offset:0                 // initC
_ds_load_b32 acc18, v177, offset:0                 // initC
_ds_load_b32 acc19, v177, offset:0                 // initC
_ds_load_b32 acc20, v177, offset:0                 // initC
_ds_load_b32 acc21, v177, offset:0                 // initC
_ds_load_b32 acc22, v177, offset:0                 // initC
_ds_load_b32 acc23, v177, offset:0                 // initC
_ds_load_b32 acc24, v177, offset:0                 // initC
_ds_load_b32 acc25, v177, offset:0                 // initC
_ds_load_b32 acc26, v177, offset:0                 // initC
_ds_load_b32 acc27, v177, offset:0                 // initC
_ds_load_b32 acc28, v177, offset:0                 // initC
_ds_load_b32 acc29, v177, offset:0                 // initC
_ds_load_b32 acc30, v177, offset:0                 // initC
_ds_load_b32 acc31, v177, offset:0                 // initC
_ds_load_b32 acc32, v177, offset:0                 // initC
_ds_load_b32 acc33, v177, offset:0                 // initC
_ds_load_b32 acc34, v177, offset:0                 // initC
_ds_load_b32 acc35, v177, offset:0                 // initC
_ds_load_b32 acc36, v177, offset:0                 // initC
_ds_load_b32 acc37, v177, offset:0                 // initC
_ds_load_b32 acc38, v177, offset:0                 // initC
_ds_load_b32 acc39, v177, offset:0                 // initC
_ds_load_b32 acc40, v177, offset:0                 // initC
_ds_load_b32 acc41, v177, offset:0                 // initC
_ds_load_b32 acc42, v177, offset:0                 // initC
_ds_load_b32 acc43, v177, offset:0                 // initC
_ds_load_b32 acc44, v177, offset:0                 // initC
_ds_load_b32 acc45, v177, offset:0                 // initC
_ds_load_b32 acc46, v177, offset:0                 // initC
_ds_load_b32 acc47, v177, offset:0                 // initC
_ds_load_b32 acc48, v177, offset:0                 // initC
_ds_load_b32 acc49, v177, offset:0                 // initC
_ds_load_b32 acc50, v177, offset:0                 // initC
_ds_load_b32 acc51, v177, offset:0                 // initC
_ds_load_b32 acc52, v177, offset:0                 // initC
_ds_load_b32 acc53, v177, offset:0                 // initC
_ds_load_b32 acc54, v177, offset:0                 // initC
_ds_load_b32 acc55, v177, offset:0                 // initC
_ds_load_b32 acc56, v177, offset:0                 // initC
_ds_load_b32 acc57, v177, offset:0                 // initC
_ds_load_b32 acc58, v177, offset:0                 // initC
_ds_load_b32 acc59, v177, offset:0                 // initC
_ds_load_b32 acc60, v177, offset:0                 // initC
_ds_load_b32 acc61, v177, offset:0                 // initC
_ds_load_b32 acc62, v177, offset:0                 // initC
_ds_load_b32 acc63, v177, offset:0                 // initC
_ds_load_b32 acc64, v177, offset:0                 // initC
_ds_load_b32 acc65, v177, offset:0                 // initC
_ds_load_b32 acc66, v177, offset:0                 // initC
_ds_load_b32 acc67, v177, offset:0                 // initC
_ds_load_b32 acc68, v177, offset:0                 // initC
_ds_load_b32 acc69, v177, offset:0                 // initC
_ds_load_b32 acc70, v177, offset:0                 // initC
_ds_load_b32 acc71, v177, offset:0                 // initC
_ds_load_b32 acc72, v177, offset:0                 // initC
_ds_load_b32 acc73, v177, offset:0                 // initC
_ds_load_b32 acc74, v177, offset:0                 // initC
_ds_load_b32 acc75, v177, offset:0                 // initC
_ds_load_b32 acc76, v177, offset:0                 // initC
_ds_load_b32 acc77, v177, offset:0                 // initC
_ds_load_b32 acc78, v177, offset:0                 // initC
_ds_load_b32 acc79, v177, offset:0                 // initC
_ds_load_b32 acc80, v177, offset:0                 // initC
_ds_load_b32 acc81, v177, offset:0                 // initC
_ds_load_b32 acc82, v177, offset:0                 // initC
_ds_load_b32 acc83, v177, offset:0                 // initC
_ds_load_b32 acc84, v177, offset:0                 // initC
_ds_load_b32 acc85, v177, offset:0                 // initC
_ds_load_b32 acc86, v177, offset:0                 // initC
_ds_load_b32 acc87, v177, offset:0                 // initC
_ds_load_b32 acc88, v177, offset:0                 // initC
_ds_load_b32 acc89, v177, offset:0                 // initC
_ds_load_b32 acc90, v177, offset:0                 // initC
_ds_load_b32 acc91, v177, offset:0                 // initC
_ds_load_b32 acc92, v177, offset:0                 // initC
_ds_load_b32 acc93, v177, offset:0                 // initC
_ds_load_b32 acc94, v177, offset:0                 // initC
_ds_load_b32 acc95, v177, offset:0                 // initC
_ds_load_b32 acc96, v177, offset:0                 // initC
_ds_load_b32 acc97, v177, offset:0                 // initC
_ds_load_b32 acc98, v177, offset:0                 // initC
_ds_load_b32 acc99, v177, offset:0                 // initC
_ds_load_b32 acc100, v177, offset:0                // initC
_ds_load_b32 acc101, v177, offset:0                // initC
_ds_load_b32 acc102, v177, offset:0                // initC
_ds_load_b32 acc103, v177, offset:0                // initC
_ds_load_b32 acc104, v177, offset:0                // initC
_ds_load_b32 acc105, v177, offset:0                // initC
_ds_load_b32 acc106, v177, offset:0                // initC
_ds_load_b32 acc107, v177, offset:0                // initC
_ds_load_b32 acc108, v177, offset:0                // initC
_ds_load_b32 acc109, v177, offset:0                // initC
_ds_load_b32 acc110, v177, offset:0                // initC
_ds_load_b32 acc111, v177, offset:0                // initC
_ds_load_b32 acc112, v177, offset:0                // initC
_ds_load_b32 acc113, v177, offset:0                // initC
_ds_load_b32 acc114, v177, offset:0                // initC
_ds_load_b32 acc115, v177, offset:0                // initC
_ds_load_b32 acc116, v177, offset:0                // initC
_ds_load_b32 acc117, v177, offset:0                // initC
_ds_load_b32 acc118, v177, offset:0                // initC
_ds_load_b32 acc119, v177, offset:0                // initC
_ds_load_b32 acc120, v177, offset:0                // initC
_ds_load_b32 acc121, v177, offset:0                // initC
_ds_load_b32 acc122, v177, offset:0                // initC
_ds_load_b32 acc123, v177, offset:0                // initC
_ds_load_b32 acc124, v177, offset:0                // initC
_ds_load_b32 acc125, v177, offset:0                // initC
_ds_load_b32 acc126, v177, offset:0                // initC
_ds_load_b32 acc127, v177, offset:0                // initC
_ds_load_b32 acc128, v177, offset:0                // initC
_ds_load_b32 acc129, v177, offset:0                // initC
_ds_load_b32 acc130, v177, offset:0                // initC
_ds_load_b32 acc131, v177, offset:0                // initC
_ds_load_b32 acc132, v177, offset:0                // initC
_ds_load_b32 acc133, v177, offset:0                // initC
_ds_load_b32 acc134, v177, offset:0                // initC
_ds_load_b32 acc135, v177, offset:0                // initC
_ds_load_b32 acc136, v177, offset:0                // initC
_ds_load_b32 acc137, v177, offset:0                // initC
_ds_load_b32 acc138, v177, offset:0                // initC
_ds_load_b32 acc139, v177, offset:0                // initC
_ds_load_b32 acc140, v177, offset:0                // initC
_ds_load_b32 acc141, v177, offset:0                // initC
_ds_load_b32 acc142, v177, offset:0                // initC
_ds_load_b32 acc143, v177, offset:0                // initC
_ds_load_b32 acc144, v177, offset:0                // initC
_ds_load_b32 acc145, v177, offset:0                // initC
_ds_load_b32 acc146, v177, offset:0                // initC
_ds_load_b32 acc147, v177, offset:0                // initC
_ds_load_b32 acc148, v177, offset:0                // initC
_ds_load_b32 acc149, v177, offset:0                // initC
_ds_load_b32 acc150, v177, offset:0                // initC
_ds_load_b32 acc151, v177, offset:0                // initC
_ds_load_b32 acc152, v177, offset:0                // initC
_ds_load_b32 acc153, v177, offset:0                // initC
_ds_load_b32 acc154, v177, offset:0                // initC
_ds_load_b32 acc155, v177, offset:0                // initC
_ds_load_b32 acc156, v177, offset:0                // initC
_ds_load_b32 acc157, v177, offset:0                // initC
_ds_load_b32 acc158, v177, offset:0                // initC
_ds_load_b32 acc159, v177, offset:0                // initC
_ds_load_b32 acc160, v177, offset:0                // initC
_ds_load_b32 acc161, v177, offset:0                // initC
_ds_load_b32 acc162, v177, offset:0                // initC
_ds_load_b32 acc163, v177, offset:0                // initC
_ds_load_b32 acc164, v177, offset:0                // initC
_ds_load_b32 acc165, v177, offset:0                // initC
_ds_load_b32 acc166, v177, offset:0                // initC
_ds_load_b32 acc167, v177, offset:0                // initC
_ds_load_b32 acc168, v177, offset:0                // initC
_ds_load_b32 acc169, v177, offset:0                // initC
_ds_load_b32 acc170, v177, offset:0                // initC
_ds_load_b32 acc171, v177, offset:0                // initC
_ds_load_b32 acc172, v177, offset:0                // initC
_ds_load_b32 acc173, v177, offset:0                // initC
_ds_load_b32 acc174, v177, offset:0                // initC
_ds_load_b32 acc175, v177, offset:0                // initC
_ds_load_b32 acc176, v177, offset:0                // initC
_ds_load_b32 acc177, v177, offset:0                // initC
_ds_load_b32 acc178, v177, offset:0                // initC
_ds_load_b32 acc179, v177, offset:0                // initC
_ds_load_b32 acc180, v177, offset:0                // initC
_ds_load_b32 acc181, v177, offset:0                // initC
_ds_load_b32 acc182, v177, offset:0                // initC
_ds_load_b32 acc183, v177, offset:0                // initC
_ds_load_b32 acc184, v177, offset:0                // initC
_ds_load_b32 acc185, v177, offset:0                // initC
_ds_load_b32 acc186, v177, offset:0                // initC
_ds_load_b32 acc187, v177, offset:0                // initC
_ds_load_b32 acc188, v177, offset:0                // initC
_ds_load_b32 acc189, v177, offset:0                // initC
_ds_load_b32 acc190, v177, offset:0                // initC
_ds_load_b32 acc191, v177, offset:0                // initC
_ds_load_b32 acc192, v177, offset:0                // initC
_ds_load_b32 acc193, v177, offset:0                // initC
_ds_load_b32 acc194, v177, offset:0                // initC
_ds_load_b32 acc195, v177, offset:0                // initC
_ds_load_b32 acc196, v177, offset:0                // initC
_ds_load_b32 acc197, v177, offset:0                // initC
_ds_load_b32 acc198, v177, offset:0                // initC
_ds_load_b32 acc199, v177, offset:0                // initC
_ds_load_b32 acc200, v177, offset:0                // initC
_ds_load_b32 acc201, v177, offset:0                // initC
_ds_load_b32 acc202, v177, offset:0                // initC
_ds_load_b32 acc203, v177, offset:0                // initC
_ds_load_b32 acc204, v177, offset:0                // initC
_ds_load_b32 acc205, v177, offset:0                // initC
_ds_load_b32 acc206, v177, offset:0                // initC
_ds_load_b32 acc207, v177, offset:0                // initC
_ds_load_b32 acc208, v177, offset:0                // initC
_ds_load_b32 acc209, v177, offset:0                // initC
_ds_load_b32 acc210, v177, offset:0                // initC
_ds_load_b32 acc211, v177, offset:0                // initC
_ds_load_b32 acc212, v177, offset:0                // initC
_ds_load_b32 acc213, v177, offset:0                // initC
_ds_load_b32 acc214, v177, offset:0                // initC
_ds_load_b32 acc215, v177, offset:0                // initC
_ds_load_b32 acc216, v177, offset:0                // initC
_ds_load_b32 acc217, v177, offset:0                // initC
_ds_load_b32 acc218, v177, offset:0                // initC
_ds_load_b32 acc219, v177, offset:0                // initC
_ds_load_b32 acc220, v177, offset:0                // initC
_ds_load_b32 acc221, v177, offset:0                // initC
_ds_load_b32 acc222, v177, offset:0                // initC
_ds_load_b32 acc223, v177, offset:0                // initC
_ds_load_b32 acc224, v177, offset:0                // initC
_ds_load_b32 acc225, v177, offset:0                // initC
_ds_load_b32 acc226, v177, offset:0                // initC
_ds_load_b32 acc227, v177, offset:0                // initC
_ds_load_b32 acc228, v177, offset:0                // initC
_ds_load_b32 acc229, v177, offset:0                // initC
_ds_load_b32 acc230, v177, offset:0                // initC
_ds_load_b32 acc231, v177, offset:0                // initC
_ds_load_b32 acc232, v177, offset:0                // initC
_ds_load_b32 acc233, v177, offset:0                // initC
_ds_load_b32 acc234, v177, offset:0                // initC
_ds_load_b32 acc235, v177, offset:0                // initC
_ds_load_b32 acc236, v177, offset:0                // initC
_ds_load_b32 acc237, v177, offset:0                // initC
_ds_load_b32 acc238, v177, offset:0                // initC
_ds_load_b32 acc239, v177, offset:0                // initC
_ds_load_b32 acc240, v177, offset:0                // initC
_ds_load_b32 acc241, v177, offset:0                // initC
_ds_load_b32 acc242, v177, offset:0                // initC
_ds_load_b32 acc243, v177, offset:0                // initC
_ds_load_b32 acc244, v177, offset:0                // initC
_ds_load_b32 acc245, v177, offset:0                // initC
_ds_load_b32 acc246, v177, offset:0                // initC
_ds_load_b32 acc247, v177, offset:0                // initC
_ds_load_b32 acc248, v177, offset:0                // initC
_ds_load_b32 acc249, v177, offset:0                // initC
_ds_load_b32 acc250, v177, offset:0                // initC
_ds_load_b32 acc251, v177, offset:0                // initC
_ds_load_b32 acc252, v177, offset:0                // initC
_ds_load_b32 acc253, v177, offset:0                // initC
_ds_load_b32 acc254, v177, offset:0                // initC
_ds_load_b32 acc255, v177, offset:0                // initC

s_cmp_eq_u32 s[sgprLoopCounterL], 0                // at last iteration?

/* after InitC, skip to end of prefetch last iter if numIter==0 */
s_cbranch_scc0 label_NoBranch_11                   // Only branch on scc1
s_getpc_B64 s[24:25]                               // addr of next instr
s_add_i32 s26, PrefetchGlobalLastIterEnd_5, 0x4    // target branch offset
s_add_u32 s24, s24, s26                            // add target branch offset
s_addc_u32 s25, s25, 0                             // add high and carry
s_setpc_b64 s[24:25]                               // branch to PrefetchGlobalLastIterEnd_5
label_NoBranch_11:

s_waitcnt vmcnt(0)                                 // lgkmcnt=-1 vmcnt=0 8wait for global read


/* local write a */
_ds_store_b128 v[vgprLocalWriteAddrA], v[vgprG2LA+0:vgprG2LA+0+3] offset:0 // lwoA_0_0_0_0 = (0*LSCA)*(MT0I+PAD) + (0*LSPA) = 0
_ds_store_b128 v[vgprLocalWriteAddrA], v[vgprG2LA+4:vgprG2LA+4+3] offset:4608 // lwoA_0_0_1_0 = (0*LSCA)*(MT0I+PAD) + (1*LSPA) = 4608
_ds_store_b128 v[vgprLocalWriteAddrA], v[vgprG2LA+8:vgprG2LA+8+3] offset:9216 // lwoA_0_0_2_0 = (0*LSCA)*(MT0I+PAD) + (2*LSPA) = 9216
_ds_store_b128 v[vgprLocalWriteAddrA], v[vgprG2LA+12:vgprG2LA+12+3] offset:13824 // lwoA_0_0_3_0 = (0*LSCA)*(MT0I+PAD) + (3*LSPA) = 13824
_ds_store_b128 v[vgprLocalWriteAddrA], v[vgprG2LA+16:vgprG2LA+16+3] offset:18432 // lwoA_0_0_4_0 = (0*LSCA)*(MT0I+PAD) + (4*LSPA) = 18432
_ds_store_b128 v[vgprLocalWriteAddrA], v[vgprG2LA+20:vgprG2LA+20+3] offset:23040 // lwoA_0_0_5_0 = (0*LSCA)*(MT0I+PAD) + (5*LSPA) = 23040
_ds_store_b128 v[vgprLocalWriteAddrA], v[vgprG2LA+24:vgprG2LA+24+3] offset:27648 // lwoA_0_0_6_0 = (0*LSCA)*(MT0I+PAD) + (6*LSPA) = 27648
_ds_store_b128 v[vgprLocalWriteAddrA], v[vgprG2LA+28:vgprG2LA+28+3] offset:32256 // lwoA_0_0_7_0 = (0*LSCA)*(MT0I+PAD) + (7*LSPA) = 32256

/* local write b */
_ds_store_b128 v[vgprLocalWriteAddrB], v[vgprG2LB+0:vgprG2LB+0+3] offset:0 // lwoB_0_0_0_0 = (0*LSCB)*(MT1J+PAD) + (0*LSPB) = 0
_ds_store_b128 v[vgprLocalWriteAddrB], v[vgprG2LB+4:vgprG2LB+4+3] offset:4608 // lwoB_0_0_1_0 = (0*LSCB)*(MT1J+PAD) + (1*LSPB) = 4608
_ds_store_b128 v[vgprLocalWriteAddrB], v[vgprG2LB+8:vgprG2LB+8+3] offset:9216 // lwoB_0_0_2_0 = (0*LSCB)*(MT1J+PAD) + (2*LSPB) = 9216
_ds_store_b128 v[vgprLocalWriteAddrB], v[vgprG2LB+12:vgprG2LB+12+3] offset:13824 // lwoB_0_0_3_0 = (0*LSCB)*(MT1J+PAD) + (3*LSPB) = 13824


/* local write swap a */


	;; [unrolled: 1-line block ×3, first 2 shown]
/* local write swap b */


	;; [unrolled: 1-line block ×4, first 2 shown]
s_cmp_eq_u32 s[sgprLoopCounterL] 0x1               // PGR=2 but only 1 loop
s_cbranch_scc1 label_0012                          // PGR=2 but only 1 loop


_global_load_b128 v[vgprG2LA+0:vgprG2LA+0+3], v[vgprGlobalReadAddrA+0:vgprGlobalReadAddrA+0+1], off, offset:0 // G -> Reg 0_0_0_0
_global_load_b128 v[vgprG2LA+4:vgprG2LA+4+3], v[vgprGlobalReadAddrA+2:vgprGlobalReadAddrA+2+1], off, offset:0 // G -> Reg 0_0_1_0
_global_load_b128 v[vgprG2LA+8:vgprG2LA+8+3], v[vgprGlobalReadAddrA+4:vgprGlobalReadAddrA+4+1], off, offset:0 // G -> Reg 0_0_2_0
_global_load_b128 v[vgprG2LA+12:vgprG2LA+12+3], v[vgprGlobalReadAddrA+6:vgprGlobalReadAddrA+6+1], off, offset:0 // G -> Reg 0_0_3_0
_global_load_b128 v[vgprG2LA+16:vgprG2LA+16+3], v[vgprGlobalReadAddrA+8:vgprGlobalReadAddrA+8+1], off, offset:0 // G -> Reg 0_0_4_0
_global_load_b128 v[vgprG2LA+20:vgprG2LA+20+3], v[vgprGlobalReadAddrA+10:vgprGlobalReadAddrA+10+1], off, offset:0 // G -> Reg 0_0_5_0
_global_load_b128 v[vgprG2LA+24:vgprG2LA+24+3], v[vgprGlobalReadAddrA+12:vgprGlobalReadAddrA+12+1], off, offset:0 // G -> Reg 0_0_6_0
_global_load_b128 v[vgprG2LA+28:vgprG2LA+28+3], v[vgprGlobalReadAddrA+14:vgprGlobalReadAddrA+14+1], off, offset:0 // G -> Reg 0_0_7_0


_global_load_b128 v[vgprG2LB+0:vgprG2LB+0+3], v[vgprGlobalReadAddrB+0:vgprGlobalReadAddrB+0+1], off, offset:0 // G -> Reg 0_0_0_0
_global_load_b128 v[vgprG2LB+4:vgprG2LB+4+3], v[vgprGlobalReadAddrB+2:vgprGlobalReadAddrB+2+1], off, offset:0 // G -> Reg 0_0_1_0
_global_load_b128 v[vgprG2LB+8:vgprG2LB+8+3], v[vgprGlobalReadAddrB+4:vgprGlobalReadAddrB+4+1], off, offset:0 // G -> Reg 0_0_2_0
_global_load_b128 v[vgprG2LB+12:vgprG2LB+12+3], v[vgprGlobalReadAddrB+6:vgprGlobalReadAddrB+6+1], off, offset:0 // G -> Reg 0_0_3_0

label_0012:                                        // 

s_waitcnt lgkmcnt(0)                               // lgkmcnt=0 vmcnt=-10prefetch wait for local write

// Skip force waitcnt0
s_barrier //


/* local read prefetch a */

_ds_load_b128 v[vgprValuA_X0_I0+0:vgprValuA_X0_I0+0+3], v[vgprLocalReadAddrA] offset:0 // L -> Reg lro=0 swapByteOffset=0 ti=128 vIdx=0 rIdx=0 oIdx=0 buffer=0 iui=0
_ds_load_b128 v[vgprValuA_X0_I0+4:vgprValuA_X0_I0+4+3], v[vgprLocalReadAddrA] offset:144 // L -> Reg lro=0 swapByteOffset=0 ti=128 vIdx=0 rIdx=0 oIdx=0 buffer=0 iui=0
	;; [unrolled: 1-line block ×4, first 2 shown]


/* local read prefetch b */

_ds_load_b128 v[vgprValuB_X0_I0+0:vgprValuB_X0_I0+0+3], v[vgprLocalReadAddrB] offset:0 // L -> Reg lro=0 swapByteOffset=0 ti=16 vIdx=0 rIdx=0 oIdx=0 buffer=0 iui=0
_ds_load_b128 v[vgprValuB_X0_I0+4:vgprValuB_X0_I0+4+3], v[vgprLocalReadAddrB] offset:2304 // L -> Reg lro=0 swapByteOffset=0 ti=16 vIdx=1 rIdx=0 oIdx=0 buffer=0 iui=0
	;; [unrolled: 1-line block ×8, first 2 shown]


/* local read inc a */

/* N/A, lro->8 */
/* self.localReadDoCntA 1 self.localReadDoCntB 1 */


/* local read inc b */

/* N/A, lro->8 */
/* self.localReadDoCntA 1 self.localReadDoCntB 1 */


	;; [unrolled: 1-line block ×3, first 2 shown]
/******************************************/
/* Unrolled Loop(s) - Begin               */
/******************************************/

openLoopL_13:
s_cmp_eq_u32 s[sgprLoopCounterL], 0x1              // LoopCounterL < EndCounter
s_cbranch_scc1 label_0014                          // PGR=2 but only 1 loop, toPGR1
s_cmp_le_u32 s[sgprLoopCounterL], 0x2              // LoopCounterL < EndCounter
s_cbranch_scc1 LoopEndL_2                          // do not enter LoopL
LoopBeginL_1:


/******************************************/
/* Unrolled Loop 1/1 - Begin              */
/******************************************/

label_0015: // LoopCopy1 


/* Begin Each Unroll: Check VGPR.checkin for INT8 LW */


	;; [unrolled: 1-line block ×3, first 2 shown]
/* iter 0 */

/*  grEndMfmaIndex:8, lwStartMfmaIndex:20, lwEndMfmaIndex:109  */
/*  numMfmaForLR:16, barrierMfmaIndex:111, LocalWritePerMfma:0.125 */
/*  mfmaIndex:0  */
s_waitcnt lgkmcnt(0)                               // lgkmcnt=0 vmcnt=-1wait for prior local read local write old=0, new=0 newLW=0 newLR=0
v_mfma_f64_16x16x4f64 a[0+0:7+0], v[vgprValuB_X0_I0+0+0+0:vgprValuB_X0_I0+0+0+0+1], v[vgprValuA_X0_I0+0+0+0:vgprValuA_X0_I0+0+0+0+1], a[0:7]
/*  mfmaIndex:1  */
_ds_load_b128 v[vgprValuA_X2_I0+0:vgprValuA_X2_I0+0+3], v[vgprLocalReadAddrA] offset:64 // L -> Reg lro=8 swapByteOffset=0 ti=128 vIdx=0 rIdx=0 oIdx=0 buffer=2 iui=0

/* global read inc A loopL */
_v_add_co_u32  v[vgprGlobalReadAddrA+0+0], vcc, v[vgprGlobalReadAddrA+0+0], v[vgprGlobalReadIncsA+0+0] // gra += incAL (lower)
_v_addc_co_u32 v[vgprGlobalReadAddrA+0+1], vcc, v[vgprGlobalReadAddrA+0+1], v[vgprGlobalReadIncsA+0+1], vcc // gra += incAL (upper)
_v_add_co_u32  v[vgprGlobalReadAddrA+2+0], vcc, v[vgprGlobalReadAddrA+2+0], v[vgprGlobalReadIncsA+0+0] // gra += incAL (lower)
v_mfma_f64_16x16x4f64 a[8+0:15+0], v[vgprValuB_X0_I0+0+0+0:vgprValuB_X0_I0+0+0+0+1], v[vgprValuA_X0_I0+4+0+0:vgprValuA_X0_I0+4+0+0+1], a[8:15]
/*  mfmaIndex:2  */
_ds_load_b128 v[vgprValuB_X2_I0+0:vgprValuB_X2_I0+0+3], v[vgprLocalReadAddrB] offset:64 // L -> Reg lro=8 swapByteOffset=0 ti=16 vIdx=0 rIdx=0 oIdx=0 buffer=2 iui=0
_v_addc_co_u32 v[vgprGlobalReadAddrA+2+1], vcc, v[vgprGlobalReadAddrA+2+1], v[vgprGlobalReadIncsA+0+1], vcc // gra += incAL (upper)
_v_add_co_u32  v[vgprGlobalReadAddrA+4+0], vcc, v[vgprGlobalReadAddrA+4+0], v[vgprGlobalReadIncsA+0+0] // gra += incAL (lower)
_v_addc_co_u32 v[vgprGlobalReadAddrA+4+1], vcc, v[vgprGlobalReadAddrA+4+1], v[vgprGlobalReadIncsA+0+1], vcc // gra += incAL (upper)
v_mfma_f64_16x16x4f64 a[16+0:23+0], v[vgprValuB_X0_I0+0+0+0:vgprValuB_X0_I0+0+0+0+1], v[vgprValuA_X0_I0+8+0+0:vgprValuA_X0_I0+8+0+0+1], a[16:23]
/*  mfmaIndex:3  */
_ds_load_b128 v[vgprValuA_X2_I0+4:vgprValuA_X2_I0+4+3], v[vgprLocalReadAddrA] offset:208 // L -> Reg lro=8 swapByteOffset=0 ti=128 vIdx=0 rIdx=0 oIdx=0 buffer=2 iui=0
_v_add_co_u32  v[vgprGlobalReadAddrA+6+0], vcc, v[vgprGlobalReadAddrA+6+0], v[vgprGlobalReadIncsA+0+0] // gra += incAL (lower)
_v_addc_co_u32 v[vgprGlobalReadAddrA+6+1], vcc, v[vgprGlobalReadAddrA+6+1], v[vgprGlobalReadIncsA+0+1], vcc // gra += incAL (upper)
_v_add_co_u32  v[vgprGlobalReadAddrA+8+0], vcc, v[vgprGlobalReadAddrA+8+0], v[vgprGlobalReadIncsA+0+0] // gra += incAL (lower)
v_mfma_f64_16x16x4f64 a[24+0:31+0], v[vgprValuB_X0_I0+0+0+0:vgprValuB_X0_I0+0+0+0+1], v[vgprValuA_X0_I0+12+0+0:vgprValuA_X0_I0+12+0+0+1], a[24:31]
/*  mfmaIndex:4  */
_ds_load_b128 v[vgprValuA_X2_I0+8:vgprValuA_X2_I0+8+3], v[vgprLocalReadAddrA] offset:18496 // L -> Reg lro=8 swapByteOffset=0 ti=128 vIdx=1 rIdx=0 oIdx=0 buffer=2 iui=0
_v_addc_co_u32 v[vgprGlobalReadAddrA+8+1], vcc, v[vgprGlobalReadAddrA+8+1], v[vgprGlobalReadIncsA+0+1], vcc // gra += incAL (upper)
_v_add_co_u32  v[vgprGlobalReadAddrA+10+0], vcc, v[vgprGlobalReadAddrA+10+0], v[vgprGlobalReadIncsA+0+0] // gra += incAL (lower)
_v_addc_co_u32 v[vgprGlobalReadAddrA+10+1], vcc, v[vgprGlobalReadAddrA+10+1], v[vgprGlobalReadIncsA+0+1], vcc // gra += incAL (upper)
v_mfma_f64_16x16x4f64 a[56+0:63+0], v[vgprValuB_X0_I0+4+0+0:vgprValuB_X0_I0+4+0+0+1], v[vgprValuA_X0_I0+12+0+0:vgprValuA_X0_I0+12+0+0+1], a[56:63]
/*  mfmaIndex:5  */
_ds_load_b128 v[vgprValuA_X2_I0+12:vgprValuA_X2_I0+12+3], v[vgprLocalReadAddrA] offset:18640 // L -> Reg lro=8 swapByteOffset=0 ti=128 vIdx=1 rIdx=0 oIdx=0 buffer=2 iui=0
_v_add_co_u32  v[vgprGlobalReadAddrA+12+0], vcc, v[vgprGlobalReadAddrA+12+0], v[vgprGlobalReadIncsA+0+0] // gra += incAL (lower)
_v_addc_co_u32 v[vgprGlobalReadAddrA+12+1], vcc, v[vgprGlobalReadAddrA+12+1], v[vgprGlobalReadIncsA+0+1], vcc // gra += incAL (upper)
_v_add_co_u32  v[vgprGlobalReadAddrA+14+0], vcc, v[vgprGlobalReadAddrA+14+0], v[vgprGlobalReadIncsA+0+0] // gra += incAL (lower)
v_mfma_f64_16x16x4f64 a[48+0:55+0], v[vgprValuB_X0_I0+4+0+0:vgprValuB_X0_I0+4+0+0+1], v[vgprValuA_X0_I0+8+0+0:vgprValuA_X0_I0+8+0+0+1], a[48:55]
/*  mfmaIndex:6  */
_ds_load_b128 v[vgprValuB_X2_I0+4:vgprValuB_X2_I0+4+3], v[vgprLocalReadAddrB] offset:2368 // L -> Reg lro=8 swapByteOffset=0 ti=16 vIdx=1 rIdx=0 oIdx=0 buffer=2 iui=0
_v_addc_co_u32 v[vgprGlobalReadAddrA+14+1], vcc, v[vgprGlobalReadAddrA+14+1], v[vgprGlobalReadIncsA+0+1], vcc // gra += incAL (upper)

/* global read inc B loopL */
_v_add_co_u32  v[vgprGlobalReadAddrB+0+0], vcc, v[vgprGlobalReadAddrB+0+0], v[vgprGlobalReadIncsB+0+0] // gra += incBL (lower)
_v_addc_co_u32 v[vgprGlobalReadAddrB+0+1], vcc, v[vgprGlobalReadAddrB+0+1], v[vgprGlobalReadIncsB+0+1], vcc // gra += incBL (upper)
v_mfma_f64_16x16x4f64 a[40+0:47+0], v[vgprValuB_X0_I0+4+0+0:vgprValuB_X0_I0+4+0+0+1], v[vgprValuA_X0_I0+4+0+0:vgprValuA_X0_I0+4+0+0+1], a[40:47]
/*  mfmaIndex:7  */
_ds_load_b128 v[vgprValuB_X2_I0+8:vgprValuB_X2_I0+8+3], v[vgprLocalReadAddrB] offset:4672 // L -> Reg lro=8 swapByteOffset=0 ti=16 vIdx=2 rIdx=0 oIdx=0 buffer=2 iui=0
_v_add_co_u32  v[vgprGlobalReadAddrB+2+0], vcc, v[vgprGlobalReadAddrB+2+0], v[vgprGlobalReadIncsB+0+0] // gra += incBL (lower)
_v_addc_co_u32 v[vgprGlobalReadAddrB+2+1], vcc, v[vgprGlobalReadAddrB+2+1], v[vgprGlobalReadIncsB+0+1], vcc // gra += incBL (upper)
_v_add_co_u32  v[vgprGlobalReadAddrB+4+0], vcc, v[vgprGlobalReadAddrB+4+0], v[vgprGlobalReadIncsB+0+0] // gra += incBL (lower)
v_mfma_f64_16x16x4f64 a[32+0:39+0], v[vgprValuB_X0_I0+4+0+0:vgprValuB_X0_I0+4+0+0+1], v[vgprValuA_X0_I0+0+0+0:vgprValuA_X0_I0+0+0+0+1], a[32:39]
/*  mfmaIndex:8  */
_ds_load_b128 v[vgprValuB_X2_I0+12:vgprValuB_X2_I0+12+3], v[vgprLocalReadAddrB] offset:6976 // L -> Reg lro=8 swapByteOffset=0 ti=16 vIdx=3 rIdx=0 oIdx=0 buffer=2 iui=0
_v_addc_co_u32 v[vgprGlobalReadAddrB+4+1], vcc, v[vgprGlobalReadAddrB+4+1], v[vgprGlobalReadIncsB+0+1], vcc // gra += incBL (upper)
_v_add_co_u32  v[vgprGlobalReadAddrB+6+0], vcc, v[vgprGlobalReadAddrB+6+0], v[vgprGlobalReadIncsB+0+0] // gra += incBL (lower)
_v_addc_co_u32 v[vgprGlobalReadAddrB+6+1], vcc, v[vgprGlobalReadAddrB+6+1], v[vgprGlobalReadIncsB+0+1], vcc // gra += incBL (upper)
v_mfma_f64_16x16x4f64 a[64+0:71+0], v[vgprValuB_X0_I0+8+0+0:vgprValuB_X0_I0+8+0+0+1], v[vgprValuA_X0_I0+0+0+0:vgprValuA_X0_I0+0+0+0+1], a[64:71]
/*  mfmaIndex:9  */
_ds_load_b128 v[vgprValuB_X2_I0+16:vgprValuB_X2_I0+16+3], v[vgprLocalReadAddrB] offset:9280 // L -> Reg lro=8 swapByteOffset=0 ti=16 vIdx=4 rIdx=0 oIdx=0 buffer=2 iui=0
v_mfma_f64_16x16x4f64 a[72+0:79+0], v[vgprValuB_X0_I0+8+0+0:vgprValuB_X0_I0+8+0+0+1], v[vgprValuA_X0_I0+4+0+0:vgprValuA_X0_I0+4+0+0+1], a[72:79]
/*  mfmaIndex:10  */
_ds_load_b128 v[vgprValuB_X2_I0+20:vgprValuB_X2_I0+20+3], v[vgprLocalReadAddrB] offset:11584 // L -> Reg lro=8 swapByteOffset=0 ti=16 vIdx=5 rIdx=0 oIdx=0 buffer=2 iui=0
	;; [unrolled: 3-line block ×4, first 2 shown]
/* localReadsVacancy: latencyLeft 1 */
v_mfma_f64_16x16x4f64 a[120+0:127+0], v[vgprValuB_X0_I0+12+0+0:vgprValuB_X0_I0+12+0+0+1], v[vgprValuA_X0_I0+12+0+0:vgprValuA_X0_I0+12+0+0+1], a[120:127]
/*  mfmaIndex:13  */
/* localReadsVacancy: latencyLeft 5 */
v_mfma_f64_16x16x4f64 a[112+0:119+0], v[vgprValuB_X0_I0+12+0+0:vgprValuB_X0_I0+12+0+0+1], v[vgprValuA_X0_I0+8+0+0:vgprValuA_X0_I0+8+0+0+1], a[112:119]
/*  mfmaIndex:14  */
	;; [unrolled: 3-line block ×7, first 2 shown]
/* localReadsVacancy: latencyLeft 5 */
/* 1 LDS buffer: read-sync-write */
s_waitcnt lgkmcnt(0)                               // 
s_barrier                                          // 
v_mfma_f64_16x16x4f64 a[152+0:159+0], v[vgprValuB_X0_I0+16+0+0:vgprValuB_X0_I0+16+0+0+1], v[vgprValuA_X0_I0+12+0+0:vgprValuA_X0_I0+12+0+0+1], a[152:159]
/*  mfmaIndex:20  */
s_setprio 3                                        // store optimization
/* sched write - iter 0 writesPerItem=1 */
s_waitcnt vmcnt(0)                                 // lgkmcnt=-1 vmcnt=0wait for global read before writing to local
_ds_store_b128 v[vgprLocalWriteAddrA], v[vgprG2LA+0:vgprG2LA+0+3] offset:0 // lwoA_0_0_0_0 = (0*LSCA)*(MT0I+PAD) + (0*LSPA) = 0
v_mfma_f64_16x16x4f64 a[184+0:191+0], v[vgprValuB_X0_I0+20+0+0:vgprValuB_X0_I0+20+0+0+1], v[vgprValuA_X0_I0+12+0+0:vgprValuA_X0_I0+12+0+0+1], a[184:191]
/*  mfmaIndex:21  */
_global_load_b128 v[vgprG2LA+0:vgprG2LA+0+3], v[vgprGlobalReadAddrA+0:vgprGlobalReadAddrA+0+1], off, offset:0 // G -> Reg 0_0_0_0
v_mfma_f64_16x16x4f64 a[176+0:183+0], v[vgprValuB_X0_I0+20+0+0:vgprValuB_X0_I0+20+0+0+1], v[vgprValuA_X0_I0+8+0+0:vgprValuA_X0_I0+8+0+0+1], a[176:183]
/*  mfmaIndex:22  */
v_mfma_f64_16x16x4f64 a[168+0:175+0], v[vgprValuB_X0_I0+20+0+0:vgprValuB_X0_I0+20+0+0+1], v[vgprValuA_X0_I0+4+0+0:vgprValuA_X0_I0+4+0+0+1], a[168:175]
/*  mfmaIndex:23  */
	;; [unrolled: 2-line block ×7, first 2 shown]
/* sched write - iter 0 writesPerItem=1 */
s_waitcnt vmcnt(0)                                 // lgkmcnt=-1 vmcnt=0wait for global read before writing to local
_ds_store_b128 v[vgprLocalWriteAddrA], v[vgprG2LA+4:vgprG2LA+4+3] offset:4608 // lwoA_0_0_1_0 = (0*LSCA)*(MT0I+PAD) + (1*LSPA) = 4608
v_mfma_f64_16x16x4f64 a[248+0:255+0], v[vgprValuB_X0_I0+28+0+0:vgprValuB_X0_I0+28+0+0+1], v[vgprValuA_X0_I0+12+0+0:vgprValuA_X0_I0+12+0+0+1], a[248:255]
/*  mfmaIndex:29  */
_global_load_b128 v[vgprG2LA+4:vgprG2LA+4+3], v[vgprGlobalReadAddrA+2:vgprGlobalReadAddrA+2+1], off, offset:0 // G -> Reg 0_0_1_0
v_mfma_f64_16x16x4f64 a[240+0:247+0], v[vgprValuB_X0_I0+28+0+0:vgprValuB_X0_I0+28+0+0+1], v[vgprValuA_X0_I0+8+0+0:vgprValuA_X0_I0+8+0+0+1], a[240:247]
/*  mfmaIndex:30  */
v_mfma_f64_16x16x4f64 a[232+0:239+0], v[vgprValuB_X0_I0+28+0+0:vgprValuB_X0_I0+28+0+0+1], v[vgprValuA_X0_I0+4+0+0:vgprValuA_X0_I0+4+0+0+1], a[232:239]
/*  mfmaIndex:31  */
v_mfma_f64_16x16x4f64 a[224+0:231+0], v[vgprValuB_X0_I0+28+0+0:vgprValuB_X0_I0+28+0+0+1], v[vgprValuA_X0_I0+0+0+0:vgprValuA_X0_I0+0+0+0+1], a[224:231]
/* numPrefetchIter=0 */
/* dataAtIterA=-1 numReadsIterA=1 skipReadsIterA=1 readsPerIterA=4 */
/* dataAtIterB=-1 numReadsIterB=1 skipReadsIterB=1 readsPerIterB=8 */


/* iter 1 */

/*  grEndMfmaIndex:8, lwStartMfmaIndex:20, lwEndMfmaIndex:109  */
/*  numMfmaForLR:16, barrierMfmaIndex:111, LocalWritePerMfma:0.125 */
/*  mfmaIndex:32  */
v_mfma_f64_16x16x4f64 a[0+0:7+0], v[vgprValuB_X0_I0+0+2+0:vgprValuB_X0_I0+0+2+0+1], v[vgprValuA_X0_I0+0+2+0:vgprValuA_X0_I0+0+2+0+1], a[0:7]
/*  mfmaIndex:33  */
v_mfma_f64_16x16x4f64 a[8+0:15+0], v[vgprValuB_X0_I0+0+2+0:vgprValuB_X0_I0+0+2+0+1], v[vgprValuA_X0_I0+4+2+0:vgprValuA_X0_I0+4+2+0+1], a[8:15]
	;; [unrolled: 2-line block ×4, first 2 shown]
/*  mfmaIndex:36  */
/* sched write - iter 1 writesPerItem=1 */
s_waitcnt vmcnt(0)                                 // lgkmcnt=-1 vmcnt=0wait for global read before writing to local
_ds_store_b128 v[vgprLocalWriteAddrA], v[vgprG2LA+8:vgprG2LA+8+3] offset:9216 // lwoA_0_0_2_0 = (0*LSCA)*(MT0I+PAD) + (2*LSPA) = 9216
v_mfma_f64_16x16x4f64 a[56+0:63+0], v[vgprValuB_X0_I0+4+2+0:vgprValuB_X0_I0+4+2+0+1], v[vgprValuA_X0_I0+12+2+0:vgprValuA_X0_I0+12+2+0+1], a[56:63]
/*  mfmaIndex:37  */
_global_load_b128 v[vgprG2LA+8:vgprG2LA+8+3], v[vgprGlobalReadAddrA+4:vgprGlobalReadAddrA+4+1], off, offset:0 // G -> Reg 0_0_2_0
v_mfma_f64_16x16x4f64 a[48+0:55+0], v[vgprValuB_X0_I0+4+2+0:vgprValuB_X0_I0+4+2+0+1], v[vgprValuA_X0_I0+8+2+0:vgprValuA_X0_I0+8+2+0+1], a[48:55]
/*  mfmaIndex:38  */
v_mfma_f64_16x16x4f64 a[40+0:47+0], v[vgprValuB_X0_I0+4+2+0:vgprValuB_X0_I0+4+2+0+1], v[vgprValuA_X0_I0+4+2+0:vgprValuA_X0_I0+4+2+0+1], a[40:47]
/*  mfmaIndex:39  */
	;; [unrolled: 2-line block ×7, first 2 shown]
/* sched write - iter 1 writesPerItem=1 */
s_waitcnt vmcnt(0)                                 // lgkmcnt=-1 vmcnt=0wait for global read before writing to local
_ds_store_b128 v[vgprLocalWriteAddrA], v[vgprG2LA+12:vgprG2LA+12+3] offset:13824 // lwoA_0_0_3_0 = (0*LSCA)*(MT0I+PAD) + (3*LSPA) = 13824
v_mfma_f64_16x16x4f64 a[120+0:127+0], v[vgprValuB_X0_I0+12+2+0:vgprValuB_X0_I0+12+2+0+1], v[vgprValuA_X0_I0+12+2+0:vgprValuA_X0_I0+12+2+0+1], a[120:127]
/*  mfmaIndex:45  */
_global_load_b128 v[vgprG2LA+12:vgprG2LA+12+3], v[vgprGlobalReadAddrA+6:vgprGlobalReadAddrA+6+1], off, offset:0 // G -> Reg 0_0_3_0
v_mfma_f64_16x16x4f64 a[112+0:119+0], v[vgprValuB_X0_I0+12+2+0:vgprValuB_X0_I0+12+2+0+1], v[vgprValuA_X0_I0+8+2+0:vgprValuA_X0_I0+8+2+0+1], a[112:119]
/*  mfmaIndex:46  */
v_mfma_f64_16x16x4f64 a[104+0:111+0], v[vgprValuB_X0_I0+12+2+0:vgprValuB_X0_I0+12+2+0+1], v[vgprValuA_X0_I0+4+2+0:vgprValuA_X0_I0+4+2+0+1], a[104:111]
/*  mfmaIndex:47  */
	;; [unrolled: 2-line block ×7, first 2 shown]
/* sched write - iter 1 writesPerItem=1 */
s_waitcnt vmcnt(0)                                 // lgkmcnt=-1 vmcnt=0wait for global read before writing to local
_ds_store_b128 v[vgprLocalWriteAddrA], v[vgprG2LA+16:vgprG2LA+16+3] offset:18432 // lwoA_0_0_4_0 = (0*LSCA)*(MT0I+PAD) + (4*LSPA) = 18432
v_mfma_f64_16x16x4f64 a[184+0:191+0], v[vgprValuB_X0_I0+20+2+0:vgprValuB_X0_I0+20+2+0+1], v[vgprValuA_X0_I0+12+2+0:vgprValuA_X0_I0+12+2+0+1], a[184:191]
/*  mfmaIndex:53  */
_global_load_b128 v[vgprG2LA+16:vgprG2LA+16+3], v[vgprGlobalReadAddrA+8:vgprGlobalReadAddrA+8+1], off, offset:0 // G -> Reg 0_0_4_0
v_mfma_f64_16x16x4f64 a[176+0:183+0], v[vgprValuB_X0_I0+20+2+0:vgprValuB_X0_I0+20+2+0+1], v[vgprValuA_X0_I0+8+2+0:vgprValuA_X0_I0+8+2+0+1], a[176:183]
/*  mfmaIndex:54  */
v_mfma_f64_16x16x4f64 a[168+0:175+0], v[vgprValuB_X0_I0+20+2+0:vgprValuB_X0_I0+20+2+0+1], v[vgprValuA_X0_I0+4+2+0:vgprValuA_X0_I0+4+2+0+1], a[168:175]
/*  mfmaIndex:55  */
	;; [unrolled: 2-line block ×7, first 2 shown]
/* sched write - iter 1 writesPerItem=1 */
s_waitcnt vmcnt(0)                                 // lgkmcnt=-1 vmcnt=0wait for global read before writing to local
_ds_store_b128 v[vgprLocalWriteAddrA], v[vgprG2LA+20:vgprG2LA+20+3] offset:23040 // lwoA_0_0_5_0 = (0*LSCA)*(MT0I+PAD) + (5*LSPA) = 23040
v_mfma_f64_16x16x4f64 a[248+0:255+0], v[vgprValuB_X0_I0+28+2+0:vgprValuB_X0_I0+28+2+0+1], v[vgprValuA_X0_I0+12+2+0:vgprValuA_X0_I0+12+2+0+1], a[248:255]
/*  mfmaIndex:61  */
_global_load_b128 v[vgprG2LA+20:vgprG2LA+20+3], v[vgprGlobalReadAddrA+10:vgprGlobalReadAddrA+10+1], off, offset:0 // G -> Reg 0_0_5_0
v_mfma_f64_16x16x4f64 a[240+0:247+0], v[vgprValuB_X0_I0+28+2+0:vgprValuB_X0_I0+28+2+0+1], v[vgprValuA_X0_I0+8+2+0:vgprValuA_X0_I0+8+2+0+1], a[240:247]
/*  mfmaIndex:62  */
v_mfma_f64_16x16x4f64 a[232+0:239+0], v[vgprValuB_X0_I0+28+2+0:vgprValuB_X0_I0+28+2+0+1], v[vgprValuA_X0_I0+4+2+0:vgprValuA_X0_I0+4+2+0+1], a[232:239]
/*  mfmaIndex:63  */
v_mfma_f64_16x16x4f64 a[224+0:231+0], v[vgprValuB_X0_I0+28+2+0:vgprValuB_X0_I0+28+2+0+1], v[vgprValuA_X0_I0+0+2+0:vgprValuA_X0_I0+0+2+0+1], a[224:231]


/* iter 2 (reset local read pointers iteration)  (swap local read pointers iteration)  */

/*  grEndMfmaIndex:8, lwStartMfmaIndex:20, lwEndMfmaIndex:109  */
/*  numMfmaForLR:16, barrierMfmaIndex:111, LocalWritePerMfma:0.125 */
/*  mfmaIndex:64  */
v_mfma_f64_16x16x4f64 a[0+0:7+0], v[vgprValuB_X2_I0+0+0+0:vgprValuB_X2_I0+0+0+0+1], v[vgprValuA_X2_I0+0+0+0:vgprValuA_X2_I0+0+0+0+1], a[0:7]
/*  mfmaIndex:65  */
v_mfma_f64_16x16x4f64 a[8+0:15+0], v[vgprValuB_X2_I0+0+0+0:vgprValuB_X2_I0+0+0+0+1], v[vgprValuA_X2_I0+4+0+0:vgprValuA_X2_I0+4+0+0+1], a[8:15]
	;; [unrolled: 2-line block ×4, first 2 shown]
/*  mfmaIndex:68  */
/* sched write - iter 2 writesPerItem=1 */
s_waitcnt vmcnt(0)                                 // lgkmcnt=-1 vmcnt=0wait for global read before writing to local
_ds_store_b128 v[vgprLocalWriteAddrA], v[vgprG2LA+24:vgprG2LA+24+3] offset:27648 // lwoA_0_0_6_0 = (0*LSCA)*(MT0I+PAD) + (6*LSPA) = 27648
v_mfma_f64_16x16x4f64 a[56+0:63+0], v[vgprValuB_X2_I0+4+0+0:vgprValuB_X2_I0+4+0+0+1], v[vgprValuA_X2_I0+12+0+0:vgprValuA_X2_I0+12+0+0+1], a[56:63]
/*  mfmaIndex:69  */
_global_load_b128 v[vgprG2LA+24:vgprG2LA+24+3], v[vgprGlobalReadAddrA+12:vgprGlobalReadAddrA+12+1], off, offset:0 // G -> Reg 0_0_6_0
v_mfma_f64_16x16x4f64 a[48+0:55+0], v[vgprValuB_X2_I0+4+0+0:vgprValuB_X2_I0+4+0+0+1], v[vgprValuA_X2_I0+8+0+0:vgprValuA_X2_I0+8+0+0+1], a[48:55]
/*  mfmaIndex:70  */
v_mfma_f64_16x16x4f64 a[40+0:47+0], v[vgprValuB_X2_I0+4+0+0:vgprValuB_X2_I0+4+0+0+1], v[vgprValuA_X2_I0+4+0+0:vgprValuA_X2_I0+4+0+0+1], a[40:47]
/*  mfmaIndex:71  */
	;; [unrolled: 2-line block ×7, first 2 shown]
/* sched write - iter 2 writesPerItem=1 */
s_waitcnt vmcnt(0)                                 // lgkmcnt=-1 vmcnt=0wait for global read before writing to local
_ds_store_b128 v[vgprLocalWriteAddrA], v[vgprG2LA+28:vgprG2LA+28+3] offset:32256 // lwoA_0_0_7_0 = (0*LSCA)*(MT0I+PAD) + (7*LSPA) = 32256
v_mfma_f64_16x16x4f64 a[120+0:127+0], v[vgprValuB_X2_I0+12+0+0:vgprValuB_X2_I0+12+0+0+1], v[vgprValuA_X2_I0+12+0+0:vgprValuA_X2_I0+12+0+0+1], a[120:127]
/*  mfmaIndex:77  */
_global_load_b128 v[vgprG2LA+28:vgprG2LA+28+3], v[vgprGlobalReadAddrA+14:vgprGlobalReadAddrA+14+1], off, offset:0 // G -> Reg 0_0_7_0
v_mfma_f64_16x16x4f64 a[112+0:119+0], v[vgprValuB_X2_I0+12+0+0:vgprValuB_X2_I0+12+0+0+1], v[vgprValuA_X2_I0+8+0+0:vgprValuA_X2_I0+8+0+0+1], a[112:119]
/*  mfmaIndex:78  */
v_mfma_f64_16x16x4f64 a[104+0:111+0], v[vgprValuB_X2_I0+12+0+0:vgprValuB_X2_I0+12+0+0+1], v[vgprValuA_X2_I0+4+0+0:vgprValuA_X2_I0+4+0+0+1], a[104:111]
/*  mfmaIndex:79  */
	;; [unrolled: 2-line block ×7, first 2 shown]
/* sched write - iter 2 writesPerItem=1 */
s_waitcnt vmcnt(0)                                 // lgkmcnt=-1 vmcnt=0wait for global read before writing to local
_ds_store_b128 v[vgprLocalWriteAddrB], v[vgprG2LB+0:vgprG2LB+0+3] offset:0 // lwoB_0_0_0_0 = (0*LSCB)*(MT1J+PAD) + (0*LSPB) = 0
v_mfma_f64_16x16x4f64 a[184+0:191+0], v[vgprValuB_X2_I0+20+0+0:vgprValuB_X2_I0+20+0+0+1], v[vgprValuA_X2_I0+12+0+0:vgprValuA_X2_I0+12+0+0+1], a[184:191]
/*  mfmaIndex:85  */
_global_load_b128 v[vgprG2LB+0:vgprG2LB+0+3], v[vgprGlobalReadAddrB+0:vgprGlobalReadAddrB+0+1], off, offset:0 // G -> Reg 0_0_0_0
v_mfma_f64_16x16x4f64 a[176+0:183+0], v[vgprValuB_X2_I0+20+0+0:vgprValuB_X2_I0+20+0+0+1], v[vgprValuA_X2_I0+8+0+0:vgprValuA_X2_I0+8+0+0+1], a[176:183]
/*  mfmaIndex:86  */
v_mfma_f64_16x16x4f64 a[168+0:175+0], v[vgprValuB_X2_I0+20+0+0:vgprValuB_X2_I0+20+0+0+1], v[vgprValuA_X2_I0+4+0+0:vgprValuA_X2_I0+4+0+0+1], a[168:175]
/*  mfmaIndex:87  */
	;; [unrolled: 2-line block ×7, first 2 shown]
/* sched write - iter 2 writesPerItem=1 */
s_waitcnt vmcnt(0)                                 // lgkmcnt=-1 vmcnt=0wait for global read before writing to local
_ds_store_b128 v[vgprLocalWriteAddrB], v[vgprG2LB+4:vgprG2LB+4+3] offset:4608 // lwoB_0_0_1_0 = (0*LSCB)*(MT1J+PAD) + (1*LSPB) = 4608
v_mfma_f64_16x16x4f64 a[248+0:255+0], v[vgprValuB_X2_I0+28+0+0:vgprValuB_X2_I0+28+0+0+1], v[vgprValuA_X2_I0+12+0+0:vgprValuA_X2_I0+12+0+0+1], a[248:255]
/*  mfmaIndex:93  */
_global_load_b128 v[vgprG2LB+4:vgprG2LB+4+3], v[vgprGlobalReadAddrB+2:vgprGlobalReadAddrB+2+1], off, offset:0 // G -> Reg 0_0_1_0
v_mfma_f64_16x16x4f64 a[240+0:247+0], v[vgprValuB_X2_I0+28+0+0:vgprValuB_X2_I0+28+0+0+1], v[vgprValuA_X2_I0+8+0+0:vgprValuA_X2_I0+8+0+0+1], a[240:247]
/*  mfmaIndex:94  */
v_mfma_f64_16x16x4f64 a[232+0:239+0], v[vgprValuB_X2_I0+28+0+0:vgprValuB_X2_I0+28+0+0+1], v[vgprValuA_X2_I0+4+0+0:vgprValuA_X2_I0+4+0+0+1], a[232:239]
/*  mfmaIndex:95  */

/* local read swap offsets a */

/* local read swap offsets b */

/* local read init pointers a */

/* localReadInitPointers */

/* local read init pointers b */

/* localReadInitPointers */
v_mfma_f64_16x16x4f64 a[224+0:231+0], v[vgprValuB_X2_I0+28+0+0:vgprValuB_X2_I0+28+0+0+1], v[vgprValuA_X2_I0+0+0+0:vgprValuA_X2_I0+0+0+0+1], a[224:231]


/* iter 3 (swap and reset local write pointers iteration)  */

/*  grEndMfmaIndex:8, lwStartMfmaIndex:20, lwEndMfmaIndex:109  */
/*  numMfmaForLR:16, barrierMfmaIndex:111, LocalWritePerMfma:0.125 */
/*  mfmaIndex:96  */
v_mfma_f64_16x16x4f64 a[0+0:7+0], v[vgprValuB_X2_I0+0+2+0:vgprValuB_X2_I0+0+2+0+1], v[vgprValuA_X2_I0+0+2+0:vgprValuA_X2_I0+0+2+0+1], a[0:7]
/*  mfmaIndex:97  */
v_mfma_f64_16x16x4f64 a[8+0:15+0], v[vgprValuB_X2_I0+0+2+0:vgprValuB_X2_I0+0+2+0+1], v[vgprValuA_X2_I0+4+2+0:vgprValuA_X2_I0+4+2+0+1], a[8:15]
	;; [unrolled: 2-line block ×4, first 2 shown]
/*  mfmaIndex:100  */
/* sched write - iter 3 writesPerItem=1 */
s_waitcnt vmcnt(0)                                 // lgkmcnt=-1 vmcnt=0wait for global read before writing to local
_ds_store_b128 v[vgprLocalWriteAddrB], v[vgprG2LB+8:vgprG2LB+8+3] offset:9216 // lwoB_0_0_2_0 = (0*LSCB)*(MT1J+PAD) + (2*LSPB) = 9216
v_mfma_f64_16x16x4f64 a[56+0:63+0], v[vgprValuB_X2_I0+4+2+0:vgprValuB_X2_I0+4+2+0+1], v[vgprValuA_X2_I0+12+2+0:vgprValuA_X2_I0+12+2+0+1], a[56:63]
/*  mfmaIndex:101  */
_global_load_b128 v[vgprG2LB+8:vgprG2LB+8+3], v[vgprGlobalReadAddrB+4:vgprGlobalReadAddrB+4+1], off, offset:0 // G -> Reg 0_0_2_0
v_mfma_f64_16x16x4f64 a[48+0:55+0], v[vgprValuB_X2_I0+4+2+0:vgprValuB_X2_I0+4+2+0+1], v[vgprValuA_X2_I0+8+2+0:vgprValuA_X2_I0+8+2+0+1], a[48:55]
/*  mfmaIndex:102  */
v_mfma_f64_16x16x4f64 a[40+0:47+0], v[vgprValuB_X2_I0+4+2+0:vgprValuB_X2_I0+4+2+0+1], v[vgprValuA_X2_I0+4+2+0:vgprValuA_X2_I0+4+2+0+1], a[40:47]
/*  mfmaIndex:103  */
	;; [unrolled: 2-line block ×7, first 2 shown]
/* sched write - iter 3 writesPerItem=1 */
s_waitcnt vmcnt(0)                                 // lgkmcnt=-1 vmcnt=0wait for global read before writing to local
_ds_store_b128 v[vgprLocalWriteAddrB], v[vgprG2LB+12:vgprG2LB+12+3] offset:13824 // lwoB_0_0_3_0 = (0*LSCB)*(MT1J+PAD) + (3*LSPB) = 13824
v_mfma_f64_16x16x4f64 a[120+0:127+0], v[vgprValuB_X2_I0+12+2+0:vgprValuB_X2_I0+12+2+0+1], v[vgprValuA_X2_I0+12+2+0:vgprValuA_X2_I0+12+2+0+1], a[120:127]
/*  mfmaIndex:109  */
_global_load_b128 v[vgprG2LB+12:vgprG2LB+12+3], v[vgprGlobalReadAddrB+6:vgprGlobalReadAddrB+6+1], off, offset:0 // G -> Reg 0_0_3_0

/* local write swap offsets a */

/* local write swap offsets b */
v_mfma_f64_16x16x4f64 a[112+0:119+0], v[vgprValuB_X2_I0+12+2+0:vgprValuB_X2_I0+12+2+0+1], v[vgprValuA_X2_I0+8+2+0:vgprValuA_X2_I0+8+2+0+1], a[112:119]
/*  mfmaIndex:110  */
v_mfma_f64_16x16x4f64 a[104+0:111+0], v[vgprValuB_X2_I0+12+2+0:vgprValuB_X2_I0+12+2+0+1], v[vgprValuA_X2_I0+4+2+0:vgprValuA_X2_I0+4+2+0+1], a[104:111]
s_setprio 0                                        // store optimization
/*  mfmaIndex:111  */
s_waitcnt lgkmcnt(0)                               // lgkmcnt=0 vmcnt=-13wait for local write
// Skip force waitcnt0
s_barrier //
v_mfma_f64_16x16x4f64 a[96+0:103+0], v[vgprValuB_X2_I0+12+2+0:vgprValuB_X2_I0+12+2+0+1], v[vgprValuA_X2_I0+0+2+0:vgprValuA_X2_I0+0+2+0+1], a[96:103]
/*  mfmaIndex:112  */
s_setprio 3                                        // store optimization
_ds_load_b128 v[vgprValuA_X0_I0+0:vgprValuA_X0_I0+0+3], v[vgprLocalReadAddrA] offset:0 // L -> Reg lro=0 swapByteOffset=0 ti=128 vIdx=0 rIdx=0 oIdx=0 buffer=0 iui=0
v_mfma_f64_16x16x4f64 a[128+0:135+0], v[vgprValuB_X2_I0+16+2+0:vgprValuB_X2_I0+16+2+0+1], v[vgprValuA_X2_I0+0+2+0:vgprValuA_X2_I0+0+2+0+1], a[128:135]
/*  mfmaIndex:113  */
_ds_load_b128 v[vgprValuB_X0_I0+0:vgprValuB_X0_I0+0+3], v[vgprLocalReadAddrB] offset:0 // L -> Reg lro=0 swapByteOffset=0 ti=16 vIdx=0 rIdx=0 oIdx=0 buffer=0 iui=0
v_mfma_f64_16x16x4f64 a[136+0:143+0], v[vgprValuB_X2_I0+16+2+0:vgprValuB_X2_I0+16+2+0+1], v[vgprValuA_X2_I0+4+2+0:vgprValuA_X2_I0+4+2+0+1], a[136:143]
/*  mfmaIndex:114  */
_ds_load_b128 v[vgprValuA_X0_I0+4:vgprValuA_X0_I0+4+3], v[vgprLocalReadAddrA] offset:144 // L -> Reg lro=0 swapByteOffset=0 ti=128 vIdx=0 rIdx=0 oIdx=0 buffer=0 iui=0
v_mfma_f64_16x16x4f64 a[144+0:151+0], v[vgprValuB_X2_I0+16+2+0:vgprValuB_X2_I0+16+2+0+1], v[vgprValuA_X2_I0+8+2+0:vgprValuA_X2_I0+8+2+0+1], a[144:151]
/*  mfmaIndex:115  */
_ds_load_b128 v[vgprValuA_X0_I0+8:vgprValuA_X0_I0+8+3], v[vgprLocalReadAddrA] offset:18432 // L -> Reg lro=0 swapByteOffset=0 ti=128 vIdx=1 rIdx=0 oIdx=0 buffer=0 iui=0
	;; [unrolled: 3-line block ×3, first 2 shown]
v_mfma_f64_16x16x4f64 a[184+0:191+0], v[vgprValuB_X2_I0+20+2+0:vgprValuB_X2_I0+20+2+0+1], v[vgprValuA_X2_I0+12+2+0:vgprValuA_X2_I0+12+2+0+1], a[184:191]
/*  mfmaIndex:117  */
_ds_load_b128 v[vgprValuB_X0_I0+4:vgprValuB_X0_I0+4+3], v[vgprLocalReadAddrB] offset:2304 // L -> Reg lro=0 swapByteOffset=0 ti=16 vIdx=1 rIdx=0 oIdx=0 buffer=0 iui=0
v_mfma_f64_16x16x4f64 a[176+0:183+0], v[vgprValuB_X2_I0+20+2+0:vgprValuB_X2_I0+20+2+0+1], v[vgprValuA_X2_I0+8+2+0:vgprValuA_X2_I0+8+2+0+1], a[176:183]
/*  mfmaIndex:118  */
_ds_load_b128 v[vgprValuB_X0_I0+8:vgprValuB_X0_I0+8+3], v[vgprLocalReadAddrB] offset:4608 // L -> Reg lro=0 swapByteOffset=0 ti=16 vIdx=2 rIdx=0 oIdx=0 buffer=0 iui=0
	;; [unrolled: 3-line block ×7, first 2 shown]
v_mfma_f64_16x16x4f64 a[216+0:223+0], v[vgprValuB_X2_I0+24+2+0:vgprValuB_X2_I0+24+2+0+1], v[vgprValuA_X2_I0+12+2+0:vgprValuA_X2_I0+12+2+0+1], a[216:223]
/*  mfmaIndex:124  */
v_mfma_f64_16x16x4f64 a[248+0:255+0], v[vgprValuB_X2_I0+28+2+0:vgprValuB_X2_I0+28+2+0+1], v[vgprValuA_X2_I0+12+2+0:vgprValuA_X2_I0+12+2+0+1], a[248:255]
/*  mfmaIndex:125  */
	;; [unrolled: 2-line block ×4, first 2 shown]
v_mfma_f64_16x16x4f64 a[224+0:231+0], v[vgprValuB_X2_I0+28+2+0:vgprValuB_X2_I0+28+2+0+1], v[vgprValuA_X2_I0+0+2+0:vgprValuA_X2_I0+0+2+0+1], a[224:231]
s_setprio 0                                        // store optimization


/******************************************/
/* Unrolled Loop - End                    */
/******************************************/


/* closeLoop loopL finalLoop=1 tailLoop=0 */
s_sub_u32 s[sgprLoopCounterL], s[sgprLoopCounterL], 1 // dec counterL
s_cmp_eq_i32 s[sgprLoopCounterL], 0x2              // counterL==2
s_cbranch_scc0 LoopBeginL_1                        // restart LoopL
LoopEndL_2:


/* Before NLL: Check VGPR.checkin for INT8 LW */


/******************************************/
/* Ord. NoGlobalLoadLoop - Begin                                      */
/******************************************/



/* iter 0 */

/*  grEndMfmaIndex:8, lwStartMfmaIndex:20, lwEndMfmaIndex:109  */
/*  numMfmaForLR:16, barrierMfmaIndex:111, LocalWritePerMfma:0.125 */
/*  mfmaIndex:0  */
s_waitcnt lgkmcnt(0)                               // lgkmcnt=0 vmcnt=-1wait for prior local read local write old=0, new=0 newLW=0 newLR=0
v_mfma_f64_16x16x4f64 a[0+0:7+0], v[vgprValuB_X0_I0+0+0+0:vgprValuB_X0_I0+0+0+0+1], v[vgprValuA_X0_I0+0+0+0:vgprValuA_X0_I0+0+0+0+1], a[0:7]
/*  mfmaIndex:1  */
_ds_load_b128 v[vgprValuA_X2_I0+0:vgprValuA_X2_I0+0+3], v[vgprLocalReadAddrA] offset:64 // L -> Reg lro=8 swapByteOffset=0 ti=128 vIdx=0 rIdx=0 oIdx=0 buffer=2 iui=0

/* global read inc A loopL */
_v_add_co_u32  v[vgprGlobalReadAddrA+0+0], vcc, v[vgprGlobalReadAddrA+0+0], v[vgprGlobalReadIncsA+0+0] // gra += incAL (lower)
_v_addc_co_u32 v[vgprGlobalReadAddrA+0+1], vcc, v[vgprGlobalReadAddrA+0+1], v[vgprGlobalReadIncsA+0+1], vcc // gra += incAL (upper)
_v_add_co_u32  v[vgprGlobalReadAddrA+2+0], vcc, v[vgprGlobalReadAddrA+2+0], v[vgprGlobalReadIncsA+0+0] // gra += incAL (lower)
v_mfma_f64_16x16x4f64 a[8+0:15+0], v[vgprValuB_X0_I0+0+0+0:vgprValuB_X0_I0+0+0+0+1], v[vgprValuA_X0_I0+4+0+0:vgprValuA_X0_I0+4+0+0+1], a[8:15]
/*  mfmaIndex:2  */
_ds_load_b128 v[vgprValuB_X2_I0+0:vgprValuB_X2_I0+0+3], v[vgprLocalReadAddrB] offset:64 // L -> Reg lro=8 swapByteOffset=0 ti=16 vIdx=0 rIdx=0 oIdx=0 buffer=2 iui=0
_v_addc_co_u32 v[vgprGlobalReadAddrA+2+1], vcc, v[vgprGlobalReadAddrA+2+1], v[vgprGlobalReadIncsA+0+1], vcc // gra += incAL (upper)
_v_add_co_u32  v[vgprGlobalReadAddrA+4+0], vcc, v[vgprGlobalReadAddrA+4+0], v[vgprGlobalReadIncsA+0+0] // gra += incAL (lower)
_v_addc_co_u32 v[vgprGlobalReadAddrA+4+1], vcc, v[vgprGlobalReadAddrA+4+1], v[vgprGlobalReadIncsA+0+1], vcc // gra += incAL (upper)
v_mfma_f64_16x16x4f64 a[16+0:23+0], v[vgprValuB_X0_I0+0+0+0:vgprValuB_X0_I0+0+0+0+1], v[vgprValuA_X0_I0+8+0+0:vgprValuA_X0_I0+8+0+0+1], a[16:23]
/*  mfmaIndex:3  */
_ds_load_b128 v[vgprValuA_X2_I0+4:vgprValuA_X2_I0+4+3], v[vgprLocalReadAddrA] offset:208 // L -> Reg lro=8 swapByteOffset=0 ti=128 vIdx=0 rIdx=0 oIdx=0 buffer=2 iui=0
_v_add_co_u32  v[vgprGlobalReadAddrA+6+0], vcc, v[vgprGlobalReadAddrA+6+0], v[vgprGlobalReadIncsA+0+0] // gra += incAL (lower)
_v_addc_co_u32 v[vgprGlobalReadAddrA+6+1], vcc, v[vgprGlobalReadAddrA+6+1], v[vgprGlobalReadIncsA+0+1], vcc // gra += incAL (upper)
_v_add_co_u32  v[vgprGlobalReadAddrA+8+0], vcc, v[vgprGlobalReadAddrA+8+0], v[vgprGlobalReadIncsA+0+0] // gra += incAL (lower)
v_mfma_f64_16x16x4f64 a[24+0:31+0], v[vgprValuB_X0_I0+0+0+0:vgprValuB_X0_I0+0+0+0+1], v[vgprValuA_X0_I0+12+0+0:vgprValuA_X0_I0+12+0+0+1], a[24:31]
/*  mfmaIndex:4  */
_ds_load_b128 v[vgprValuA_X2_I0+8:vgprValuA_X2_I0+8+3], v[vgprLocalReadAddrA] offset:18496 // L -> Reg lro=8 swapByteOffset=0 ti=128 vIdx=1 rIdx=0 oIdx=0 buffer=2 iui=0
_v_addc_co_u32 v[vgprGlobalReadAddrA+8+1], vcc, v[vgprGlobalReadAddrA+8+1], v[vgprGlobalReadIncsA+0+1], vcc // gra += incAL (upper)
_v_add_co_u32  v[vgprGlobalReadAddrA+10+0], vcc, v[vgprGlobalReadAddrA+10+0], v[vgprGlobalReadIncsA+0+0] // gra += incAL (lower)
_v_addc_co_u32 v[vgprGlobalReadAddrA+10+1], vcc, v[vgprGlobalReadAddrA+10+1], v[vgprGlobalReadIncsA+0+1], vcc // gra += incAL (upper)
v_mfma_f64_16x16x4f64 a[56+0:63+0], v[vgprValuB_X0_I0+4+0+0:vgprValuB_X0_I0+4+0+0+1], v[vgprValuA_X0_I0+12+0+0:vgprValuA_X0_I0+12+0+0+1], a[56:63]
/*  mfmaIndex:5  */
_ds_load_b128 v[vgprValuA_X2_I0+12:vgprValuA_X2_I0+12+3], v[vgprLocalReadAddrA] offset:18640 // L -> Reg lro=8 swapByteOffset=0 ti=128 vIdx=1 rIdx=0 oIdx=0 buffer=2 iui=0
_v_add_co_u32  v[vgprGlobalReadAddrA+12+0], vcc, v[vgprGlobalReadAddrA+12+0], v[vgprGlobalReadIncsA+0+0] // gra += incAL (lower)
_v_addc_co_u32 v[vgprGlobalReadAddrA+12+1], vcc, v[vgprGlobalReadAddrA+12+1], v[vgprGlobalReadIncsA+0+1], vcc // gra += incAL (upper)
_v_add_co_u32  v[vgprGlobalReadAddrA+14+0], vcc, v[vgprGlobalReadAddrA+14+0], v[vgprGlobalReadIncsA+0+0] // gra += incAL (lower)
v_mfma_f64_16x16x4f64 a[48+0:55+0], v[vgprValuB_X0_I0+4+0+0:vgprValuB_X0_I0+4+0+0+1], v[vgprValuA_X0_I0+8+0+0:vgprValuA_X0_I0+8+0+0+1], a[48:55]
/*  mfmaIndex:6  */
_ds_load_b128 v[vgprValuB_X2_I0+4:vgprValuB_X2_I0+4+3], v[vgprLocalReadAddrB] offset:2368 // L -> Reg lro=8 swapByteOffset=0 ti=16 vIdx=1 rIdx=0 oIdx=0 buffer=2 iui=0
_v_addc_co_u32 v[vgprGlobalReadAddrA+14+1], vcc, v[vgprGlobalReadAddrA+14+1], v[vgprGlobalReadIncsA+0+1], vcc // gra += incAL (upper)

/* global read inc B loopL */
_v_add_co_u32  v[vgprGlobalReadAddrB+0+0], vcc, v[vgprGlobalReadAddrB+0+0], v[vgprGlobalReadIncsB+0+0] // gra += incBL (lower)
_v_addc_co_u32 v[vgprGlobalReadAddrB+0+1], vcc, v[vgprGlobalReadAddrB+0+1], v[vgprGlobalReadIncsB+0+1], vcc // gra += incBL (upper)
v_mfma_f64_16x16x4f64 a[40+0:47+0], v[vgprValuB_X0_I0+4+0+0:vgprValuB_X0_I0+4+0+0+1], v[vgprValuA_X0_I0+4+0+0:vgprValuA_X0_I0+4+0+0+1], a[40:47]
/*  mfmaIndex:7  */
_ds_load_b128 v[vgprValuB_X2_I0+8:vgprValuB_X2_I0+8+3], v[vgprLocalReadAddrB] offset:4672 // L -> Reg lro=8 swapByteOffset=0 ti=16 vIdx=2 rIdx=0 oIdx=0 buffer=2 iui=0
_v_add_co_u32  v[vgprGlobalReadAddrB+2+0], vcc, v[vgprGlobalReadAddrB+2+0], v[vgprGlobalReadIncsB+0+0] // gra += incBL (lower)
_v_addc_co_u32 v[vgprGlobalReadAddrB+2+1], vcc, v[vgprGlobalReadAddrB+2+1], v[vgprGlobalReadIncsB+0+1], vcc // gra += incBL (upper)
_v_add_co_u32  v[vgprGlobalReadAddrB+4+0], vcc, v[vgprGlobalReadAddrB+4+0], v[vgprGlobalReadIncsB+0+0] // gra += incBL (lower)
v_mfma_f64_16x16x4f64 a[32+0:39+0], v[vgprValuB_X0_I0+4+0+0:vgprValuB_X0_I0+4+0+0+1], v[vgprValuA_X0_I0+0+0+0:vgprValuA_X0_I0+0+0+0+1], a[32:39]
/*  mfmaIndex:8  */
_ds_load_b128 v[vgprValuB_X2_I0+12:vgprValuB_X2_I0+12+3], v[vgprLocalReadAddrB] offset:6976 // L -> Reg lro=8 swapByteOffset=0 ti=16 vIdx=3 rIdx=0 oIdx=0 buffer=2 iui=0
_v_addc_co_u32 v[vgprGlobalReadAddrB+4+1], vcc, v[vgprGlobalReadAddrB+4+1], v[vgprGlobalReadIncsB+0+1], vcc // gra += incBL (upper)
_v_add_co_u32  v[vgprGlobalReadAddrB+6+0], vcc, v[vgprGlobalReadAddrB+6+0], v[vgprGlobalReadIncsB+0+0] // gra += incBL (lower)
_v_addc_co_u32 v[vgprGlobalReadAddrB+6+1], vcc, v[vgprGlobalReadAddrB+6+1], v[vgprGlobalReadIncsB+0+1], vcc // gra += incBL (upper)
v_mfma_f64_16x16x4f64 a[64+0:71+0], v[vgprValuB_X0_I0+8+0+0:vgprValuB_X0_I0+8+0+0+1], v[vgprValuA_X0_I0+0+0+0:vgprValuA_X0_I0+0+0+0+1], a[64:71]
/*  mfmaIndex:9  */
_ds_load_b128 v[vgprValuB_X2_I0+16:vgprValuB_X2_I0+16+3], v[vgprLocalReadAddrB] offset:9280 // L -> Reg lro=8 swapByteOffset=0 ti=16 vIdx=4 rIdx=0 oIdx=0 buffer=2 iui=0
v_mfma_f64_16x16x4f64 a[72+0:79+0], v[vgprValuB_X0_I0+8+0+0:vgprValuB_X0_I0+8+0+0+1], v[vgprValuA_X0_I0+4+0+0:vgprValuA_X0_I0+4+0+0+1], a[72:79]
/*  mfmaIndex:10  */
_ds_load_b128 v[vgprValuB_X2_I0+20:vgprValuB_X2_I0+20+3], v[vgprLocalReadAddrB] offset:11584 // L -> Reg lro=8 swapByteOffset=0 ti=16 vIdx=5 rIdx=0 oIdx=0 buffer=2 iui=0
	;; [unrolled: 3-line block ×4, first 2 shown]
/* localReadsVacancy: latencyLeft 1 */
v_mfma_f64_16x16x4f64 a[120+0:127+0], v[vgprValuB_X0_I0+12+0+0:vgprValuB_X0_I0+12+0+0+1], v[vgprValuA_X0_I0+12+0+0:vgprValuA_X0_I0+12+0+0+1], a[120:127]
/*  mfmaIndex:13  */
/* localReadsVacancy: latencyLeft 5 */
v_mfma_f64_16x16x4f64 a[112+0:119+0], v[vgprValuB_X0_I0+12+0+0:vgprValuB_X0_I0+12+0+0+1], v[vgprValuA_X0_I0+8+0+0:vgprValuA_X0_I0+8+0+0+1], a[112:119]
/*  mfmaIndex:14  */
/* localReadsVacancy: latencyLeft 5 */
v_mfma_f64_16x16x4f64 a[104+0:111+0], v[vgprValuB_X0_I0+12+0+0:vgprValuB_X0_I0+12+0+0+1], v[vgprValuA_X0_I0+4+0+0:vgprValuA_X0_I0+4+0+0+1], a[104:111]
/*  mfmaIndex:15  */
/* localReadsVacancy: latencyLeft 5 */
v_mfma_f64_16x16x4f64 a[96+0:103+0], v[vgprValuB_X0_I0+12+0+0:vgprValuB_X0_I0+12+0+0+1], v[vgprValuA_X0_I0+0+0+0:vgprValuA_X0_I0+0+0+0+1], a[96:103]
/*  mfmaIndex:16  */
/* localReadsVacancy: latencyLeft 5 */
v_mfma_f64_16x16x4f64 a[128+0:135+0], v[vgprValuB_X0_I0+16+0+0:vgprValuB_X0_I0+16+0+0+1], v[vgprValuA_X0_I0+0+0+0:vgprValuA_X0_I0+0+0+0+1], a[128:135]
/*  mfmaIndex:17  */
/* localReadsVacancy: latencyLeft 5 */
v_mfma_f64_16x16x4f64 a[136+0:143+0], v[vgprValuB_X0_I0+16+0+0:vgprValuB_X0_I0+16+0+0+1], v[vgprValuA_X0_I0+4+0+0:vgprValuA_X0_I0+4+0+0+1], a[136:143]
/*  mfmaIndex:18  */
/* localReadsVacancy: latencyLeft 5 */
v_mfma_f64_16x16x4f64 a[144+0:151+0], v[vgprValuB_X0_I0+16+0+0:vgprValuB_X0_I0+16+0+0+1], v[vgprValuA_X0_I0+8+0+0:vgprValuA_X0_I0+8+0+0+1], a[144:151]
/*  mfmaIndex:19  */
/* localReadsVacancy: latencyLeft 5 */
/* 1 LDS buffer: read-sync-write */
s_waitcnt lgkmcnt(0)                               // 
s_barrier                                          // 
v_mfma_f64_16x16x4f64 a[152+0:159+0], v[vgprValuB_X0_I0+16+0+0:vgprValuB_X0_I0+16+0+0+1], v[vgprValuA_X0_I0+12+0+0:vgprValuA_X0_I0+12+0+0+1], a[152:159]
/*  mfmaIndex:20  */
s_setprio 3                                        // store optimization
/* sched write - iter 0 writesPerItem=1 */
s_waitcnt vmcnt(0)                                 // lgkmcnt=-1 vmcnt=0wait for global read before writing to local
_ds_store_b128 v[vgprLocalWriteAddrA], v[vgprG2LA+0:vgprG2LA+0+3] offset:0 // lwoA_0_0_0_0 = (0*LSCA)*(MT0I+PAD) + (0*LSPA) = 0
v_mfma_f64_16x16x4f64 a[184+0:191+0], v[vgprValuB_X0_I0+20+0+0:vgprValuB_X0_I0+20+0+0+1], v[vgprValuA_X0_I0+12+0+0:vgprValuA_X0_I0+12+0+0+1], a[184:191]
/*  mfmaIndex:21  */
v_mfma_f64_16x16x4f64 a[176+0:183+0], v[vgprValuB_X0_I0+20+0+0:vgprValuB_X0_I0+20+0+0+1], v[vgprValuA_X0_I0+8+0+0:vgprValuA_X0_I0+8+0+0+1], a[176:183]
/*  mfmaIndex:22  */
	;; [unrolled: 2-line block ×8, first 2 shown]
/* sched write - iter 0 writesPerItem=1 */
s_waitcnt vmcnt(0)                                 // lgkmcnt=-1 vmcnt=0wait for global read before writing to local
_ds_store_b128 v[vgprLocalWriteAddrA], v[vgprG2LA+4:vgprG2LA+4+3] offset:4608 // lwoA_0_0_1_0 = (0*LSCA)*(MT0I+PAD) + (1*LSPA) = 4608
v_mfma_f64_16x16x4f64 a[248+0:255+0], v[vgprValuB_X0_I0+28+0+0:vgprValuB_X0_I0+28+0+0+1], v[vgprValuA_X0_I0+12+0+0:vgprValuA_X0_I0+12+0+0+1], a[248:255]
/*  mfmaIndex:29  */
v_mfma_f64_16x16x4f64 a[240+0:247+0], v[vgprValuB_X0_I0+28+0+0:vgprValuB_X0_I0+28+0+0+1], v[vgprValuA_X0_I0+8+0+0:vgprValuA_X0_I0+8+0+0+1], a[240:247]
/*  mfmaIndex:30  */
	;; [unrolled: 2-line block ×3, first 2 shown]
v_mfma_f64_16x16x4f64 a[224+0:231+0], v[vgprValuB_X0_I0+28+0+0:vgprValuB_X0_I0+28+0+0+1], v[vgprValuA_X0_I0+0+0+0:vgprValuA_X0_I0+0+0+0+1], a[224:231]
/* numPrefetchIter=0 */
/* dataAtIterA=-1 numReadsIterA=1 skipReadsIterA=1 readsPerIterA=4 */
/* dataAtIterB=-1 numReadsIterB=1 skipReadsIterB=1 readsPerIterB=8 */


/* iter 1 */

/*  grEndMfmaIndex:8, lwStartMfmaIndex:20, lwEndMfmaIndex:109  */
/*  numMfmaForLR:16, barrierMfmaIndex:111, LocalWritePerMfma:0.125 */
/*  mfmaIndex:32  */
v_mfma_f64_16x16x4f64 a[0+0:7+0], v[vgprValuB_X0_I0+0+2+0:vgprValuB_X0_I0+0+2+0+1], v[vgprValuA_X0_I0+0+2+0:vgprValuA_X0_I0+0+2+0+1], a[0:7]
/*  mfmaIndex:33  */
v_mfma_f64_16x16x4f64 a[8+0:15+0], v[vgprValuB_X0_I0+0+2+0:vgprValuB_X0_I0+0+2+0+1], v[vgprValuA_X0_I0+4+2+0:vgprValuA_X0_I0+4+2+0+1], a[8:15]
	;; [unrolled: 2-line block ×4, first 2 shown]
/*  mfmaIndex:36  */
/* sched write - iter 1 writesPerItem=1 */
s_waitcnt vmcnt(0)                                 // lgkmcnt=-1 vmcnt=0wait for global read before writing to local
_ds_store_b128 v[vgprLocalWriteAddrA], v[vgprG2LA+8:vgprG2LA+8+3] offset:9216 // lwoA_0_0_2_0 = (0*LSCA)*(MT0I+PAD) + (2*LSPA) = 9216
v_mfma_f64_16x16x4f64 a[56+0:63+0], v[vgprValuB_X0_I0+4+2+0:vgprValuB_X0_I0+4+2+0+1], v[vgprValuA_X0_I0+12+2+0:vgprValuA_X0_I0+12+2+0+1], a[56:63]
/*  mfmaIndex:37  */
v_mfma_f64_16x16x4f64 a[48+0:55+0], v[vgprValuB_X0_I0+4+2+0:vgprValuB_X0_I0+4+2+0+1], v[vgprValuA_X0_I0+8+2+0:vgprValuA_X0_I0+8+2+0+1], a[48:55]
/*  mfmaIndex:38  */
	;; [unrolled: 2-line block ×8, first 2 shown]
/* sched write - iter 1 writesPerItem=1 */
s_waitcnt vmcnt(0)                                 // lgkmcnt=-1 vmcnt=0wait for global read before writing to local
_ds_store_b128 v[vgprLocalWriteAddrA], v[vgprG2LA+12:vgprG2LA+12+3] offset:13824 // lwoA_0_0_3_0 = (0*LSCA)*(MT0I+PAD) + (3*LSPA) = 13824
v_mfma_f64_16x16x4f64 a[120+0:127+0], v[vgprValuB_X0_I0+12+2+0:vgprValuB_X0_I0+12+2+0+1], v[vgprValuA_X0_I0+12+2+0:vgprValuA_X0_I0+12+2+0+1], a[120:127]
/*  mfmaIndex:45  */
v_mfma_f64_16x16x4f64 a[112+0:119+0], v[vgprValuB_X0_I0+12+2+0:vgprValuB_X0_I0+12+2+0+1], v[vgprValuA_X0_I0+8+2+0:vgprValuA_X0_I0+8+2+0+1], a[112:119]
/*  mfmaIndex:46  */
	;; [unrolled: 2-line block ×8, first 2 shown]
/* sched write - iter 1 writesPerItem=1 */
s_waitcnt vmcnt(0)                                 // lgkmcnt=-1 vmcnt=0wait for global read before writing to local
_ds_store_b128 v[vgprLocalWriteAddrA], v[vgprG2LA+16:vgprG2LA+16+3] offset:18432 // lwoA_0_0_4_0 = (0*LSCA)*(MT0I+PAD) + (4*LSPA) = 18432
v_mfma_f64_16x16x4f64 a[184+0:191+0], v[vgprValuB_X0_I0+20+2+0:vgprValuB_X0_I0+20+2+0+1], v[vgprValuA_X0_I0+12+2+0:vgprValuA_X0_I0+12+2+0+1], a[184:191]
/*  mfmaIndex:53  */
v_mfma_f64_16x16x4f64 a[176+0:183+0], v[vgprValuB_X0_I0+20+2+0:vgprValuB_X0_I0+20+2+0+1], v[vgprValuA_X0_I0+8+2+0:vgprValuA_X0_I0+8+2+0+1], a[176:183]
/*  mfmaIndex:54  */
	;; [unrolled: 2-line block ×8, first 2 shown]
/* sched write - iter 1 writesPerItem=1 */
s_waitcnt vmcnt(0)                                 // lgkmcnt=-1 vmcnt=0wait for global read before writing to local
_ds_store_b128 v[vgprLocalWriteAddrA], v[vgprG2LA+20:vgprG2LA+20+3] offset:23040 // lwoA_0_0_5_0 = (0*LSCA)*(MT0I+PAD) + (5*LSPA) = 23040
v_mfma_f64_16x16x4f64 a[248+0:255+0], v[vgprValuB_X0_I0+28+2+0:vgprValuB_X0_I0+28+2+0+1], v[vgprValuA_X0_I0+12+2+0:vgprValuA_X0_I0+12+2+0+1], a[248:255]
/*  mfmaIndex:61  */
v_mfma_f64_16x16x4f64 a[240+0:247+0], v[vgprValuB_X0_I0+28+2+0:vgprValuB_X0_I0+28+2+0+1], v[vgprValuA_X0_I0+8+2+0:vgprValuA_X0_I0+8+2+0+1], a[240:247]
/*  mfmaIndex:62  */
	;; [unrolled: 2-line block ×3, first 2 shown]
v_mfma_f64_16x16x4f64 a[224+0:231+0], v[vgprValuB_X0_I0+28+2+0:vgprValuB_X0_I0+28+2+0+1], v[vgprValuA_X0_I0+0+2+0:vgprValuA_X0_I0+0+2+0+1], a[224:231]


/* iter 2 (reset local read pointers iteration)  (swap local read pointers iteration)  */

/*  grEndMfmaIndex:8, lwStartMfmaIndex:20, lwEndMfmaIndex:109  */
/*  numMfmaForLR:16, barrierMfmaIndex:111, LocalWritePerMfma:0.125 */
/*  mfmaIndex:64  */
v_mfma_f64_16x16x4f64 a[0+0:7+0], v[vgprValuB_X2_I0+0+0+0:vgprValuB_X2_I0+0+0+0+1], v[vgprValuA_X2_I0+0+0+0:vgprValuA_X2_I0+0+0+0+1], a[0:7]
/*  mfmaIndex:65  */
v_mfma_f64_16x16x4f64 a[8+0:15+0], v[vgprValuB_X2_I0+0+0+0:vgprValuB_X2_I0+0+0+0+1], v[vgprValuA_X2_I0+4+0+0:vgprValuA_X2_I0+4+0+0+1], a[8:15]
	;; [unrolled: 2-line block ×4, first 2 shown]
/*  mfmaIndex:68  */
/* sched write - iter 2 writesPerItem=1 */
s_waitcnt vmcnt(0)                                 // lgkmcnt=-1 vmcnt=0wait for global read before writing to local
_ds_store_b128 v[vgprLocalWriteAddrA], v[vgprG2LA+24:vgprG2LA+24+3] offset:27648 // lwoA_0_0_6_0 = (0*LSCA)*(MT0I+PAD) + (6*LSPA) = 27648
v_mfma_f64_16x16x4f64 a[56+0:63+0], v[vgprValuB_X2_I0+4+0+0:vgprValuB_X2_I0+4+0+0+1], v[vgprValuA_X2_I0+12+0+0:vgprValuA_X2_I0+12+0+0+1], a[56:63]
/*  mfmaIndex:69  */
v_mfma_f64_16x16x4f64 a[48+0:55+0], v[vgprValuB_X2_I0+4+0+0:vgprValuB_X2_I0+4+0+0+1], v[vgprValuA_X2_I0+8+0+0:vgprValuA_X2_I0+8+0+0+1], a[48:55]
/*  mfmaIndex:70  */
v_mfma_f64_16x16x4f64 a[40+0:47+0], v[vgprValuB_X2_I0+4+0+0:vgprValuB_X2_I0+4+0+0+1], v[vgprValuA_X2_I0+4+0+0:vgprValuA_X2_I0+4+0+0+1], a[40:47]
/*  mfmaIndex:71  */
v_mfma_f64_16x16x4f64 a[32+0:39+0], v[vgprValuB_X2_I0+4+0+0:vgprValuB_X2_I0+4+0+0+1], v[vgprValuA_X2_I0+0+0+0:vgprValuA_X2_I0+0+0+0+1], a[32:39]
/*  mfmaIndex:72  */
v_mfma_f64_16x16x4f64 a[64+0:71+0], v[vgprValuB_X2_I0+8+0+0:vgprValuB_X2_I0+8+0+0+1], v[vgprValuA_X2_I0+0+0+0:vgprValuA_X2_I0+0+0+0+1], a[64:71]
/*  mfmaIndex:73  */
v_mfma_f64_16x16x4f64 a[72+0:79+0], v[vgprValuB_X2_I0+8+0+0:vgprValuB_X2_I0+8+0+0+1], v[vgprValuA_X2_I0+4+0+0:vgprValuA_X2_I0+4+0+0+1], a[72:79]
/*  mfmaIndex:74  */
v_mfma_f64_16x16x4f64 a[80+0:87+0], v[vgprValuB_X2_I0+8+0+0:vgprValuB_X2_I0+8+0+0+1], v[vgprValuA_X2_I0+8+0+0:vgprValuA_X2_I0+8+0+0+1], a[80:87]
/*  mfmaIndex:75  */
v_mfma_f64_16x16x4f64 a[88+0:95+0], v[vgprValuB_X2_I0+8+0+0:vgprValuB_X2_I0+8+0+0+1], v[vgprValuA_X2_I0+12+0+0:vgprValuA_X2_I0+12+0+0+1], a[88:95]
/*  mfmaIndex:76  */
/* sched write - iter 2 writesPerItem=1 */
s_waitcnt vmcnt(0)                                 // lgkmcnt=-1 vmcnt=0wait for global read before writing to local
_ds_store_b128 v[vgprLocalWriteAddrA], v[vgprG2LA+28:vgprG2LA+28+3] offset:32256 // lwoA_0_0_7_0 = (0*LSCA)*(MT0I+PAD) + (7*LSPA) = 32256
v_mfma_f64_16x16x4f64 a[120+0:127+0], v[vgprValuB_X2_I0+12+0+0:vgprValuB_X2_I0+12+0+0+1], v[vgprValuA_X2_I0+12+0+0:vgprValuA_X2_I0+12+0+0+1], a[120:127]
/*  mfmaIndex:77  */
v_mfma_f64_16x16x4f64 a[112+0:119+0], v[vgprValuB_X2_I0+12+0+0:vgprValuB_X2_I0+12+0+0+1], v[vgprValuA_X2_I0+8+0+0:vgprValuA_X2_I0+8+0+0+1], a[112:119]
/*  mfmaIndex:78  */
v_mfma_f64_16x16x4f64 a[104+0:111+0], v[vgprValuB_X2_I0+12+0+0:vgprValuB_X2_I0+12+0+0+1], v[vgprValuA_X2_I0+4+0+0:vgprValuA_X2_I0+4+0+0+1], a[104:111]
/*  mfmaIndex:79  */
v_mfma_f64_16x16x4f64 a[96+0:103+0], v[vgprValuB_X2_I0+12+0+0:vgprValuB_X2_I0+12+0+0+1], v[vgprValuA_X2_I0+0+0+0:vgprValuA_X2_I0+0+0+0+1], a[96:103]
/*  mfmaIndex:80  */
v_mfma_f64_16x16x4f64 a[128+0:135+0], v[vgprValuB_X2_I0+16+0+0:vgprValuB_X2_I0+16+0+0+1], v[vgprValuA_X2_I0+0+0+0:vgprValuA_X2_I0+0+0+0+1], a[128:135]
/*  mfmaIndex:81  */
v_mfma_f64_16x16x4f64 a[136+0:143+0], v[vgprValuB_X2_I0+16+0+0:vgprValuB_X2_I0+16+0+0+1], v[vgprValuA_X2_I0+4+0+0:vgprValuA_X2_I0+4+0+0+1], a[136:143]
/*  mfmaIndex:82  */
v_mfma_f64_16x16x4f64 a[144+0:151+0], v[vgprValuB_X2_I0+16+0+0:vgprValuB_X2_I0+16+0+0+1], v[vgprValuA_X2_I0+8+0+0:vgprValuA_X2_I0+8+0+0+1], a[144:151]
/*  mfmaIndex:83  */
v_mfma_f64_16x16x4f64 a[152+0:159+0], v[vgprValuB_X2_I0+16+0+0:vgprValuB_X2_I0+16+0+0+1], v[vgprValuA_X2_I0+12+0+0:vgprValuA_X2_I0+12+0+0+1], a[152:159]
/*  mfmaIndex:84  */
/* sched write - iter 2 writesPerItem=1 */
s_waitcnt vmcnt(0)                                 // lgkmcnt=-1 vmcnt=0wait for global read before writing to local
_ds_store_b128 v[vgprLocalWriteAddrB], v[vgprG2LB+0:vgprG2LB+0+3] offset:0 // lwoB_0_0_0_0 = (0*LSCB)*(MT1J+PAD) + (0*LSPB) = 0
v_mfma_f64_16x16x4f64 a[184+0:191+0], v[vgprValuB_X2_I0+20+0+0:vgprValuB_X2_I0+20+0+0+1], v[vgprValuA_X2_I0+12+0+0:vgprValuA_X2_I0+12+0+0+1], a[184:191]
/*  mfmaIndex:85  */
v_mfma_f64_16x16x4f64 a[176+0:183+0], v[vgprValuB_X2_I0+20+0+0:vgprValuB_X2_I0+20+0+0+1], v[vgprValuA_X2_I0+8+0+0:vgprValuA_X2_I0+8+0+0+1], a[176:183]
/*  mfmaIndex:86  */
	;; [unrolled: 2-line block ×8, first 2 shown]
/* sched write - iter 2 writesPerItem=1 */
s_waitcnt vmcnt(0)                                 // lgkmcnt=-1 vmcnt=0wait for global read before writing to local
_ds_store_b128 v[vgprLocalWriteAddrB], v[vgprG2LB+4:vgprG2LB+4+3] offset:4608 // lwoB_0_0_1_0 = (0*LSCB)*(MT1J+PAD) + (1*LSPB) = 4608
v_mfma_f64_16x16x4f64 a[248+0:255+0], v[vgprValuB_X2_I0+28+0+0:vgprValuB_X2_I0+28+0+0+1], v[vgprValuA_X2_I0+12+0+0:vgprValuA_X2_I0+12+0+0+1], a[248:255]
/*  mfmaIndex:93  */
v_mfma_f64_16x16x4f64 a[240+0:247+0], v[vgprValuB_X2_I0+28+0+0:vgprValuB_X2_I0+28+0+0+1], v[vgprValuA_X2_I0+8+0+0:vgprValuA_X2_I0+8+0+0+1], a[240:247]
/*  mfmaIndex:94  */
	;; [unrolled: 2-line block ×3, first 2 shown]

/* local read swap offsets a */

/* local read swap offsets b */

/* local read init pointers a */

/* localReadInitPointers */

/* local read init pointers b */

/* localReadInitPointers */
v_mfma_f64_16x16x4f64 a[224+0:231+0], v[vgprValuB_X2_I0+28+0+0:vgprValuB_X2_I0+28+0+0+1], v[vgprValuA_X2_I0+0+0+0:vgprValuA_X2_I0+0+0+0+1], a[224:231]


/* iter 3 (swap and reset local write pointers iteration)  */

/*  grEndMfmaIndex:8, lwStartMfmaIndex:20, lwEndMfmaIndex:109  */
/*  numMfmaForLR:16, barrierMfmaIndex:111, LocalWritePerMfma:0.125 */
/*  mfmaIndex:96  */
v_mfma_f64_16x16x4f64 a[0+0:7+0], v[vgprValuB_X2_I0+0+2+0:vgprValuB_X2_I0+0+2+0+1], v[vgprValuA_X2_I0+0+2+0:vgprValuA_X2_I0+0+2+0+1], a[0:7]
/*  mfmaIndex:97  */
v_mfma_f64_16x16x4f64 a[8+0:15+0], v[vgprValuB_X2_I0+0+2+0:vgprValuB_X2_I0+0+2+0+1], v[vgprValuA_X2_I0+4+2+0:vgprValuA_X2_I0+4+2+0+1], a[8:15]
/*  mfmaIndex:98  */
v_mfma_f64_16x16x4f64 a[16+0:23+0], v[vgprValuB_X2_I0+0+2+0:vgprValuB_X2_I0+0+2+0+1], v[vgprValuA_X2_I0+8+2+0:vgprValuA_X2_I0+8+2+0+1], a[16:23]
/*  mfmaIndex:99  */
v_mfma_f64_16x16x4f64 a[24+0:31+0], v[vgprValuB_X2_I0+0+2+0:vgprValuB_X2_I0+0+2+0+1], v[vgprValuA_X2_I0+12+2+0:vgprValuA_X2_I0+12+2+0+1], a[24:31]
/*  mfmaIndex:100  */
/* sched write - iter 3 writesPerItem=1 */
s_waitcnt vmcnt(0)                                 // lgkmcnt=-1 vmcnt=0wait for global read before writing to local
_ds_store_b128 v[vgprLocalWriteAddrB], v[vgprG2LB+8:vgprG2LB+8+3] offset:9216 // lwoB_0_0_2_0 = (0*LSCB)*(MT1J+PAD) + (2*LSPB) = 9216
v_mfma_f64_16x16x4f64 a[56+0:63+0], v[vgprValuB_X2_I0+4+2+0:vgprValuB_X2_I0+4+2+0+1], v[vgprValuA_X2_I0+12+2+0:vgprValuA_X2_I0+12+2+0+1], a[56:63]
/*  mfmaIndex:101  */
v_mfma_f64_16x16x4f64 a[48+0:55+0], v[vgprValuB_X2_I0+4+2+0:vgprValuB_X2_I0+4+2+0+1], v[vgprValuA_X2_I0+8+2+0:vgprValuA_X2_I0+8+2+0+1], a[48:55]
/*  mfmaIndex:102  */
	;; [unrolled: 2-line block ×8, first 2 shown]
/* sched write - iter 3 writesPerItem=1 */
s_waitcnt vmcnt(0)                                 // lgkmcnt=-1 vmcnt=0wait for global read before writing to local
_ds_store_b128 v[vgprLocalWriteAddrB], v[vgprG2LB+12:vgprG2LB+12+3] offset:13824 // lwoB_0_0_3_0 = (0*LSCB)*(MT1J+PAD) + (3*LSPB) = 13824
v_mfma_f64_16x16x4f64 a[120+0:127+0], v[vgprValuB_X2_I0+12+2+0:vgprValuB_X2_I0+12+2+0+1], v[vgprValuA_X2_I0+12+2+0:vgprValuA_X2_I0+12+2+0+1], a[120:127]
/*  mfmaIndex:109  */

/* local write swap offsets a */

/* local write swap offsets b */
v_mfma_f64_16x16x4f64 a[112+0:119+0], v[vgprValuB_X2_I0+12+2+0:vgprValuB_X2_I0+12+2+0+1], v[vgprValuA_X2_I0+8+2+0:vgprValuA_X2_I0+8+2+0+1], a[112:119]
/*  mfmaIndex:110  */
v_mfma_f64_16x16x4f64 a[104+0:111+0], v[vgprValuB_X2_I0+12+2+0:vgprValuB_X2_I0+12+2+0+1], v[vgprValuA_X2_I0+4+2+0:vgprValuA_X2_I0+4+2+0+1], a[104:111]
s_setprio 0                                        // store optimization
/*  mfmaIndex:111  */
s_waitcnt lgkmcnt(0)                               // lgkmcnt=0 vmcnt=-13wait for local write
// Skip force waitcnt0
s_barrier //
v_mfma_f64_16x16x4f64 a[96+0:103+0], v[vgprValuB_X2_I0+12+2+0:vgprValuB_X2_I0+12+2+0+1], v[vgprValuA_X2_I0+0+2+0:vgprValuA_X2_I0+0+2+0+1], a[96:103]
/*  mfmaIndex:112  */
s_setprio 3                                        // store optimization
_ds_load_b128 v[vgprValuA_X0_I0+0:vgprValuA_X0_I0+0+3], v[vgprLocalReadAddrA] offset:0 // L -> Reg lro=0 swapByteOffset=0 ti=128 vIdx=0 rIdx=0 oIdx=0 buffer=0 iui=0
v_mfma_f64_16x16x4f64 a[128+0:135+0], v[vgprValuB_X2_I0+16+2+0:vgprValuB_X2_I0+16+2+0+1], v[vgprValuA_X2_I0+0+2+0:vgprValuA_X2_I0+0+2+0+1], a[128:135]
/*  mfmaIndex:113  */
_ds_load_b128 v[vgprValuB_X0_I0+0:vgprValuB_X0_I0+0+3], v[vgprLocalReadAddrB] offset:0 // L -> Reg lro=0 swapByteOffset=0 ti=16 vIdx=0 rIdx=0 oIdx=0 buffer=0 iui=0
v_mfma_f64_16x16x4f64 a[136+0:143+0], v[vgprValuB_X2_I0+16+2+0:vgprValuB_X2_I0+16+2+0+1], v[vgprValuA_X2_I0+4+2+0:vgprValuA_X2_I0+4+2+0+1], a[136:143]
/*  mfmaIndex:114  */
_ds_load_b128 v[vgprValuA_X0_I0+4:vgprValuA_X0_I0+4+3], v[vgprLocalReadAddrA] offset:144 // L -> Reg lro=0 swapByteOffset=0 ti=128 vIdx=0 rIdx=0 oIdx=0 buffer=0 iui=0
v_mfma_f64_16x16x4f64 a[144+0:151+0], v[vgprValuB_X2_I0+16+2+0:vgprValuB_X2_I0+16+2+0+1], v[vgprValuA_X2_I0+8+2+0:vgprValuA_X2_I0+8+2+0+1], a[144:151]
/*  mfmaIndex:115  */
_ds_load_b128 v[vgprValuA_X0_I0+8:vgprValuA_X0_I0+8+3], v[vgprLocalReadAddrA] offset:18432 // L -> Reg lro=0 swapByteOffset=0 ti=128 vIdx=1 rIdx=0 oIdx=0 buffer=0 iui=0
	;; [unrolled: 3-line block ×3, first 2 shown]
v_mfma_f64_16x16x4f64 a[184+0:191+0], v[vgprValuB_X2_I0+20+2+0:vgprValuB_X2_I0+20+2+0+1], v[vgprValuA_X2_I0+12+2+0:vgprValuA_X2_I0+12+2+0+1], a[184:191]
/*  mfmaIndex:117  */
_ds_load_b128 v[vgprValuB_X0_I0+4:vgprValuB_X0_I0+4+3], v[vgprLocalReadAddrB] offset:2304 // L -> Reg lro=0 swapByteOffset=0 ti=16 vIdx=1 rIdx=0 oIdx=0 buffer=0 iui=0
v_mfma_f64_16x16x4f64 a[176+0:183+0], v[vgprValuB_X2_I0+20+2+0:vgprValuB_X2_I0+20+2+0+1], v[vgprValuA_X2_I0+8+2+0:vgprValuA_X2_I0+8+2+0+1], a[176:183]
/*  mfmaIndex:118  */
_ds_load_b128 v[vgprValuB_X0_I0+8:vgprValuB_X0_I0+8+3], v[vgprLocalReadAddrB] offset:4608 // L -> Reg lro=0 swapByteOffset=0 ti=16 vIdx=2 rIdx=0 oIdx=0 buffer=0 iui=0
	;; [unrolled: 3-line block ×7, first 2 shown]
v_mfma_f64_16x16x4f64 a[216+0:223+0], v[vgprValuB_X2_I0+24+2+0:vgprValuB_X2_I0+24+2+0+1], v[vgprValuA_X2_I0+12+2+0:vgprValuA_X2_I0+12+2+0+1], a[216:223]
/*  mfmaIndex:124  */
v_mfma_f64_16x16x4f64 a[248+0:255+0], v[vgprValuB_X2_I0+28+2+0:vgprValuB_X2_I0+28+2+0+1], v[vgprValuA_X2_I0+12+2+0:vgprValuA_X2_I0+12+2+0+1], a[248:255]
/*  mfmaIndex:125  */
	;; [unrolled: 2-line block ×4, first 2 shown]
v_mfma_f64_16x16x4f64 a[224+0:231+0], v[vgprValuB_X2_I0+28+2+0:vgprValuB_X2_I0+28+2+0+1], v[vgprValuA_X2_I0+0+2+0:vgprValuA_X2_I0+0+2+0+1], a[224:231]
s_setprio 0                                        // store optimization

label_0014:


/******************************************/
/* Ord. NoLoadLoop - Begin                                      */
/******************************************/


	;; [unrolled: 1-line block ×4, first 2 shown]
/* iter 0 (last unrolled loop) */

/*  grEndMfmaIndex:0, lwStartMfmaIndex:109, lwEndMfmaIndex:109  */
/*  numMfmaForLR:16, barrierMfmaIndex:111, LocalWritePerMfma:0.125 */
/*  mfmaIndex:0  */
s_waitcnt lgkmcnt(0)                               // lgkmcnt=0 vmcnt=-1wait for prior local read local write old=0, new=0 newLW=0 newLR=0
v_mfma_f64_16x16x4f64 a[0+0:7+0], v[vgprValuB_X0_I0+0+0+0:vgprValuB_X0_I0+0+0+0+1], v[vgprValuA_X0_I0+0+0+0:vgprValuA_X0_I0+0+0+0+1], a[0:7]
/*  mfmaIndex:1  */
_ds_load_b128 v[vgprValuA_X2_I0+0:vgprValuA_X2_I0+0+3], v[vgprLocalReadAddrA] offset:64 // L -> Reg lro=8 swapByteOffset=0 ti=128 vIdx=0 rIdx=0 oIdx=0 buffer=2 iui=0
v_mfma_f64_16x16x4f64 a[8+0:15+0], v[vgprValuB_X0_I0+0+0+0:vgprValuB_X0_I0+0+0+0+1], v[vgprValuA_X0_I0+4+0+0:vgprValuA_X0_I0+4+0+0+1], a[8:15]
/*  mfmaIndex:2  */
_ds_load_b128 v[vgprValuB_X2_I0+0:vgprValuB_X2_I0+0+3], v[vgprLocalReadAddrB] offset:64 // L -> Reg lro=8 swapByteOffset=0 ti=16 vIdx=0 rIdx=0 oIdx=0 buffer=2 iui=0
v_mfma_f64_16x16x4f64 a[16+0:23+0], v[vgprValuB_X0_I0+0+0+0:vgprValuB_X0_I0+0+0+0+1], v[vgprValuA_X0_I0+8+0+0:vgprValuA_X0_I0+8+0+0+1], a[16:23]
/*  mfmaIndex:3  */
_ds_load_b128 v[vgprValuA_X2_I0+4:vgprValuA_X2_I0+4+3], v[vgprLocalReadAddrA] offset:208 // L -> Reg lro=8 swapByteOffset=0 ti=128 vIdx=0 rIdx=0 oIdx=0 buffer=2 iui=0
v_mfma_f64_16x16x4f64 a[24+0:31+0], v[vgprValuB_X0_I0+0+0+0:vgprValuB_X0_I0+0+0+0+1], v[vgprValuA_X0_I0+12+0+0:vgprValuA_X0_I0+12+0+0+1], a[24:31]
/*  mfmaIndex:4  */
_ds_load_b128 v[vgprValuA_X2_I0+8:vgprValuA_X2_I0+8+3], v[vgprLocalReadAddrA] offset:18496 // L -> Reg lro=8 swapByteOffset=0 ti=128 vIdx=1 rIdx=0 oIdx=0 buffer=2 iui=0
	;; [unrolled: 3-line block ×3, first 2 shown]
v_mfma_f64_16x16x4f64 a[48+0:55+0], v[vgprValuB_X0_I0+4+0+0:vgprValuB_X0_I0+4+0+0+1], v[vgprValuA_X0_I0+8+0+0:vgprValuA_X0_I0+8+0+0+1], a[48:55]
/*  mfmaIndex:6  */
_ds_load_b128 v[vgprValuB_X2_I0+4:vgprValuB_X2_I0+4+3], v[vgprLocalReadAddrB] offset:2368 // L -> Reg lro=8 swapByteOffset=0 ti=16 vIdx=1 rIdx=0 oIdx=0 buffer=2 iui=0
v_mfma_f64_16x16x4f64 a[40+0:47+0], v[vgprValuB_X0_I0+4+0+0:vgprValuB_X0_I0+4+0+0+1], v[vgprValuA_X0_I0+4+0+0:vgprValuA_X0_I0+4+0+0+1], a[40:47]
/*  mfmaIndex:7  */
_ds_load_b128 v[vgprValuB_X2_I0+8:vgprValuB_X2_I0+8+3], v[vgprLocalReadAddrB] offset:4672 // L -> Reg lro=8 swapByteOffset=0 ti=16 vIdx=2 rIdx=0 oIdx=0 buffer=2 iui=0
	;; [unrolled: 3-line block ×7, first 2 shown]
/* localReadsVacancy: latencyLeft 1 */
v_mfma_f64_16x16x4f64 a[120+0:127+0], v[vgprValuB_X0_I0+12+0+0:vgprValuB_X0_I0+12+0+0+1], v[vgprValuA_X0_I0+12+0+0:vgprValuA_X0_I0+12+0+0+1], a[120:127]
/*  mfmaIndex:13  */
/* localReadsVacancy: latencyLeft 5 */
v_mfma_f64_16x16x4f64 a[112+0:119+0], v[vgprValuB_X0_I0+12+0+0:vgprValuB_X0_I0+12+0+0+1], v[vgprValuA_X0_I0+8+0+0:vgprValuA_X0_I0+8+0+0+1], a[112:119]
/*  mfmaIndex:14  */
/* localReadsVacancy: latencyLeft 5 */
v_mfma_f64_16x16x4f64 a[104+0:111+0], v[vgprValuB_X0_I0+12+0+0:vgprValuB_X0_I0+12+0+0+1], v[vgprValuA_X0_I0+4+0+0:vgprValuA_X0_I0+4+0+0+1], a[104:111]
/*  mfmaIndex:15  */
/* localReadsVacancy: latencyLeft 5 */
v_mfma_f64_16x16x4f64 a[96+0:103+0], v[vgprValuB_X0_I0+12+0+0:vgprValuB_X0_I0+12+0+0+1], v[vgprValuA_X0_I0+0+0+0:vgprValuA_X0_I0+0+0+0+1], a[96:103]
/*  mfmaIndex:16  */
/* localReadsVacancy: latencyLeft 5 */
v_mfma_f64_16x16x4f64 a[128+0:135+0], v[vgprValuB_X0_I0+16+0+0:vgprValuB_X0_I0+16+0+0+1], v[vgprValuA_X0_I0+0+0+0:vgprValuA_X0_I0+0+0+0+1], a[128:135]
/*  mfmaIndex:17  */
/* localReadsVacancy: latencyLeft 5 */
v_mfma_f64_16x16x4f64 a[136+0:143+0], v[vgprValuB_X0_I0+16+0+0:vgprValuB_X0_I0+16+0+0+1], v[vgprValuA_X0_I0+4+0+0:vgprValuA_X0_I0+4+0+0+1], a[136:143]
/*  mfmaIndex:18  */
/* localReadsVacancy: latencyLeft 5 */
v_mfma_f64_16x16x4f64 a[144+0:151+0], v[vgprValuB_X0_I0+16+0+0:vgprValuB_X0_I0+16+0+0+1], v[vgprValuA_X0_I0+8+0+0:vgprValuA_X0_I0+8+0+0+1], a[144:151]
/*  mfmaIndex:19  */
/* localReadsVacancy: latencyLeft 5 */
v_mfma_f64_16x16x4f64 a[152+0:159+0], v[vgprValuB_X0_I0+16+0+0:vgprValuB_X0_I0+16+0+0+1], v[vgprValuA_X0_I0+12+0+0:vgprValuA_X0_I0+12+0+0+1], a[152:159]
/*  mfmaIndex:20  */
/* localReadsVacancy: latencyLeft 5 */
v_mfma_f64_16x16x4f64 a[184+0:191+0], v[vgprValuB_X0_I0+20+0+0:vgprValuB_X0_I0+20+0+0+1], v[vgprValuA_X0_I0+12+0+0:vgprValuA_X0_I0+12+0+0+1], a[184:191]
/*  mfmaIndex:21  */
/* localReadsVacancy: latencyLeft 5 */
v_mfma_f64_16x16x4f64 a[176+0:183+0], v[vgprValuB_X0_I0+20+0+0:vgprValuB_X0_I0+20+0+0+1], v[vgprValuA_X0_I0+8+0+0:vgprValuA_X0_I0+8+0+0+1], a[176:183]
/*  mfmaIndex:22  */
/* localReadsVacancy: latencyLeft 5 */
v_mfma_f64_16x16x4f64 a[168+0:175+0], v[vgprValuB_X0_I0+20+0+0:vgprValuB_X0_I0+20+0+0+1], v[vgprValuA_X0_I0+4+0+0:vgprValuA_X0_I0+4+0+0+1], a[168:175]
/*  mfmaIndex:23  */
/* localReadsVacancy: latencyLeft 5 */
v_mfma_f64_16x16x4f64 a[160+0:167+0], v[vgprValuB_X0_I0+20+0+0:vgprValuB_X0_I0+20+0+0+1], v[vgprValuA_X0_I0+0+0+0:vgprValuA_X0_I0+0+0+0+1], a[160:167]
/*  mfmaIndex:24  */
/* localReadsVacancy: latencyLeft 5 */
v_mfma_f64_16x16x4f64 a[192+0:199+0], v[vgprValuB_X0_I0+24+0+0:vgprValuB_X0_I0+24+0+0+1], v[vgprValuA_X0_I0+0+0+0:vgprValuA_X0_I0+0+0+0+1], a[192:199]
/*  mfmaIndex:25  */
/* localReadsVacancy: latencyLeft 5 */
v_mfma_f64_16x16x4f64 a[200+0:207+0], v[vgprValuB_X0_I0+24+0+0:vgprValuB_X0_I0+24+0+0+1], v[vgprValuA_X0_I0+4+0+0:vgprValuA_X0_I0+4+0+0+1], a[200:207]
/*  mfmaIndex:26  */
/* localReadsVacancy: latencyLeft 5 */
v_mfma_f64_16x16x4f64 a[208+0:215+0], v[vgprValuB_X0_I0+24+0+0:vgprValuB_X0_I0+24+0+0+1], v[vgprValuA_X0_I0+8+0+0:vgprValuA_X0_I0+8+0+0+1], a[208:215]
/*  mfmaIndex:27  */
/* localReadsVacancy: latencyLeft 5 */
v_mfma_f64_16x16x4f64 a[216+0:223+0], v[vgprValuB_X0_I0+24+0+0:vgprValuB_X0_I0+24+0+0+1], v[vgprValuA_X0_I0+12+0+0:vgprValuA_X0_I0+12+0+0+1], a[216:223]
/*  mfmaIndex:28  */
/* localReadsVacancy: latencyLeft 5 */
v_mfma_f64_16x16x4f64 a[248+0:255+0], v[vgprValuB_X0_I0+28+0+0:vgprValuB_X0_I0+28+0+0+1], v[vgprValuA_X0_I0+12+0+0:vgprValuA_X0_I0+12+0+0+1], a[248:255]
/*  mfmaIndex:29  */
/* localReadsVacancy: latencyLeft 5 */
v_mfma_f64_16x16x4f64 a[240+0:247+0], v[vgprValuB_X0_I0+28+0+0:vgprValuB_X0_I0+28+0+0+1], v[vgprValuA_X0_I0+8+0+0:vgprValuA_X0_I0+8+0+0+1], a[240:247]
/*  mfmaIndex:30  */
/* localReadsVacancy: latencyLeft 5 */
v_mfma_f64_16x16x4f64 a[232+0:239+0], v[vgprValuB_X0_I0+28+0+0:vgprValuB_X0_I0+28+0+0+1], v[vgprValuA_X0_I0+4+0+0:vgprValuA_X0_I0+4+0+0+1], a[232:239]
/*  mfmaIndex:31  */
/* localReadsVacancy: latencyLeft 5 */
v_mfma_f64_16x16x4f64 a[224+0:231+0], v[vgprValuB_X0_I0+28+0+0:vgprValuB_X0_I0+28+0+0+1], v[vgprValuA_X0_I0+0+0+0:vgprValuA_X0_I0+0+0+0+1], a[224:231]
/* numPrefetchIter=0 */
/* dataAtIterA=-1 numReadsIterA=1 skipReadsIterA=1 readsPerIterA=4 */
/* dataAtIterB=-1 numReadsIterB=1 skipReadsIterB=1 readsPerIterB=8 */


/* iter 1 (last unrolled loop) */

/*  grEndMfmaIndex:0, lwStartMfmaIndex:109, lwEndMfmaIndex:109  */
/*  numMfmaForLR:16, barrierMfmaIndex:111, LocalWritePerMfma:0.125 */
/*  mfmaIndex:32  */
/* localReadsVacancy: latencyLeft 5 */
s_waitcnt lgkmcnt(12)                              // lgkmcnt=0 vmcnt=-1wait for prior local read local write old=0, new=12 newLW=0 newLR=12
v_mfma_f64_16x16x4f64 a[0+0:7+0], v[vgprValuB_X0_I0+0+2+0:vgprValuB_X0_I0+0+2+0+1], v[vgprValuA_X0_I0+0+2+0:vgprValuA_X0_I0+0+2+0+1], a[0:7]
/*  mfmaIndex:33  */
/* localReadsVacancy: latencyLeft 5 */
v_mfma_f64_16x16x4f64 a[8+0:15+0], v[vgprValuB_X0_I0+0+2+0:vgprValuB_X0_I0+0+2+0+1], v[vgprValuA_X0_I0+4+2+0:vgprValuA_X0_I0+4+2+0+1], a[8:15]
/*  mfmaIndex:34  */
/* localReadsVacancy: latencyLeft 5 */
	;; [unrolled: 3-line block ×31, first 2 shown]
v_mfma_f64_16x16x4f64 a[224+0:231+0], v[vgprValuB_X0_I0+28+2+0:vgprValuB_X0_I0+28+2+0+1], v[vgprValuA_X0_I0+0+2+0:vgprValuA_X0_I0+0+2+0+1], a[224:231]
/* numPrefetchIter=0 */
/* dataAtIterA=-1 numReadsIterA=1 skipReadsIterA=1 readsPerIterA=4 */
/* dataAtIterB=-1 numReadsIterB=1 skipReadsIterB=1 readsPerIterB=8 */


/* iter 2 (last unrolled loop) */

/*  grEndMfmaIndex:0, lwStartMfmaIndex:109, lwEndMfmaIndex:109  */
/*  numMfmaForLR:16, barrierMfmaIndex:111, LocalWritePerMfma:0.125 */
/*  mfmaIndex:64  */
/* localReadsVacancy: latencyLeft 5 */
s_waitcnt lgkmcnt(0)                               // lgkmcnt=0 vmcnt=-1wait for prior local read local write old=0, new=0 newLW=0 newLR=0
v_mfma_f64_16x16x4f64 a[0+0:7+0], v[vgprValuB_X2_I0+0+0+0:vgprValuB_X2_I0+0+0+0+1], v[vgprValuA_X2_I0+0+0+0:vgprValuA_X2_I0+0+0+0+1], a[0:7]
/*  mfmaIndex:65  */
/* localReadsVacancy: latencyLeft 5 */
v_mfma_f64_16x16x4f64 a[8+0:15+0], v[vgprValuB_X2_I0+0+0+0:vgprValuB_X2_I0+0+0+0+1], v[vgprValuA_X2_I0+4+0+0:vgprValuA_X2_I0+4+0+0+1], a[8:15]
/*  mfmaIndex:66  */
/* localReadsVacancy: latencyLeft 5 */
	;; [unrolled: 3-line block ×31, first 2 shown]
v_mfma_f64_16x16x4f64 a[224+0:231+0], v[vgprValuB_X2_I0+28+0+0:vgprValuB_X2_I0+28+0+0+1], v[vgprValuA_X2_I0+0+0+0:vgprValuA_X2_I0+0+0+0+1], a[224:231]
/* numPrefetchIter=0 */
/* dataAtIterA=0 numReadsIterA=1 skipReadsIterA=0 readsPerIterA=4 */
/* dataAtIterB=0 numReadsIterB=1 skipReadsIterB=0 readsPerIterB=8 */


/* iter 3 (last unrolled loop) */

/*  grEndMfmaIndex:0, lwStartMfmaIndex:109, lwEndMfmaIndex:109  */
/*  numMfmaForLR:16, barrierMfmaIndex:111, LocalWritePerMfma:0.125 */
/*  mfmaIndex:96  */
s_waitcnt lgkmcnt(0)                               // lgkmcnt=0 vmcnt=-1wait for prior local read local write old=0, new=0 newLW=0 newLR=0
v_mfma_f64_16x16x4f64 a[0+0:7+0], v[vgprValuB_X2_I0+0+2+0:vgprValuB_X2_I0+0+2+0+1], v[vgprValuA_X2_I0+0+2+0:vgprValuA_X2_I0+0+2+0+1], a[0:7]
/*  mfmaIndex:97  */
v_mfma_f64_16x16x4f64 a[8+0:15+0], v[vgprValuB_X2_I0+0+2+0:vgprValuB_X2_I0+0+2+0+1], v[vgprValuA_X2_I0+4+2+0:vgprValuA_X2_I0+4+2+0+1], a[8:15]
/*  mfmaIndex:98  */
	;; [unrolled: 2-line block ×12, first 2 shown]
/* 1 LDS buffer: read-sync-write */
s_waitcnt lgkmcnt(0)                               // 
s_barrier                                          // 
v_mfma_f64_16x16x4f64 a[120+0:127+0], v[vgprValuB_X2_I0+12+2+0:vgprValuB_X2_I0+12+2+0+1], v[vgprValuA_X2_I0+12+2+0:vgprValuA_X2_I0+12+2+0+1], a[120:127]
/*  mfmaIndex:109  */
s_setprio 3                                        // store optimization
v_mfma_f64_16x16x4f64 a[112+0:119+0], v[vgprValuB_X2_I0+12+2+0:vgprValuB_X2_I0+12+2+0+1], v[vgprValuA_X2_I0+8+2+0:vgprValuA_X2_I0+8+2+0+1], a[112:119]
/*  mfmaIndex:110  */
v_mfma_f64_16x16x4f64 a[104+0:111+0], v[vgprValuB_X2_I0+12+2+0:vgprValuB_X2_I0+12+2+0+1], v[vgprValuA_X2_I0+4+2+0:vgprValuA_X2_I0+4+2+0+1], a[104:111]
s_setprio 0                                        // store optimization
/*  mfmaIndex:111  */
v_mfma_f64_16x16x4f64 a[96+0:103+0], v[vgprValuB_X2_I0+12+2+0:vgprValuB_X2_I0+12+2+0+1], v[vgprValuA_X2_I0+0+2+0:vgprValuA_X2_I0+0+2+0+1], a[96:103]
/*  mfmaIndex:112  */
s_setprio 3                                        // store optimization
v_mfma_f64_16x16x4f64 a[128+0:135+0], v[vgprValuB_X2_I0+16+2+0:vgprValuB_X2_I0+16+2+0+1], v[vgprValuA_X2_I0+0+2+0:vgprValuA_X2_I0+0+2+0+1], a[128:135]
/*  mfmaIndex:113  */
v_mfma_f64_16x16x4f64 a[136+0:143+0], v[vgprValuB_X2_I0+16+2+0:vgprValuB_X2_I0+16+2+0+1], v[vgprValuA_X2_I0+4+2+0:vgprValuA_X2_I0+4+2+0+1], a[136:143]
/*  mfmaIndex:114  */
	;; [unrolled: 2-line block ×15, first 2 shown]
v_mfma_f64_16x16x4f64 a[224+0:231+0], v[vgprValuB_X2_I0+28+2+0:vgprValuB_X2_I0+28+2+0+1], v[vgprValuA_X2_I0+0+2+0:vgprValuA_X2_I0+0+2+0+1], a[224:231]
/* numPrefetchIter=0 */
/* dataAtIterA=0 numReadsIterA=1 skipReadsIterA=0 readsPerIterA=4 */
/* dataAtIterB=0 numReadsIterB=1 skipReadsIterB=0 readsPerIterB=8 */

PrefetchGlobalLastIterEnd_5:


/******************************************/
/* Tail Loop                              */
/******************************************/


/* local write reset offsets a */


	;; [unrolled: 1-line block ×3, first 2 shown]
/* local write reset offsets b */


	;; [unrolled: 1-line block ×3, first 2 shown]
//numIterL = (((sizeL % LOCAL_DEPTHU) + LOCAL_SPLITU - 1) / LOCAL_SPLITU)
s_and_b32 s[sgprLoopCounterL], 15, s[sgprSizesSum+0] // s[sgprLoopCounterL] = s[sgprSizesSum+0] % 16
s_cmp_lg_u32 s[sgprGSUSumIdx], s[sgprGSUSumIdx+1]  // gsuSumIdx == numIterPerWgRemainder
s_cmov_b32 s[sgprLoopCounterL], 0x0                // numIter=0 if gsuSumIdx!=remainder
s_cmp_eq_u32 s[sgprLoopCounterL], 0x0              // numIterL == 0
s_cbranch_scc1 SkipTailLoopL_8                     // skip to end of tail loop b/c numIter==0
s_mov_b32 s[sgprOrigLoopCounter], 0                // repurpose to count each localRead increment


/* Update M0 for DTLDS */


	;; [unrolled: 1-line block ×3, first 2 shown]
/* global read a */

/* global addressing - max read address = Tensor2dSizeA */
s_mul_hi_u32 s1, s[sgprWorkGroup2], s[sgprStrideAK] // 64b tensorA size in elements
s_mul_i32 s0, s[sgprWorkGroup2], s[sgprStrideAK]   // 64b tensorA size in elements
s_add_u32 s0, s[sgprTensor2dSizeA], s0             // add Tensor2dSizeA
s_addc_u32 s1, s[sgprTensor2dSizeA+1], s1          // add Tensor2dSizeA
s_lshl_b64 s[0:1], s[0:1], 0x3                     // <- tensorA size in bytes
s_add_u32 s0, s28, s0                              // prepend address lower
s_addc_u32 s1, s29, s1                             // prepend address upper
v_mov_b32 v178, s0                                 // sgpr->vgpr
v_mov_b32 v179, s1                                 // sgpr->vgpr
s_mov_b64 s[0:1], 0xFFFFFFFFFFFFFFFF               // to restore all threads active
v_mov_b32 v177, 0x8                                // bpe*numElementsPerLoad
v_mov_b32 v180, 0x0                                // zero
/* g2l=0, load component 0 */
_v_cmpx_lt_u64 vcc, v[vgprGlobalReadAddrA+0:vgprGlobalReadAddrA+0+1], v[178:179] // addr < maxAddr
_global_load_b64 v[vgprG2LA+0+0:vgprG2LA+0+0+1], v[vgprGlobalReadAddrA+0:vgprGlobalReadAddrA+0+1], off, offset:0 // load one global value
s_or_saveexec_b64 vcc, s[0:1]                      // all threads active
_v_add_co_u32 v[vgprGlobalReadAddrA+0+0], vcc, v[vgprGlobalReadAddrA+0+0], v177 // gra += 1 (lower)
_v_addc_co_u32 v[vgprGlobalReadAddrA+0+1], vcc, v[vgprGlobalReadAddrA+0+1], v180, vcc // gra += 1 (upper)
/* g2l=0, load component 1 */
_v_cmpx_lt_u64 vcc, v[vgprGlobalReadAddrA+0:vgprGlobalReadAddrA+0+1], v[178:179] // addr < maxAddr
_global_load_b64 v[vgprG2LA+0+2:vgprG2LA+0+2+1], v[vgprGlobalReadAddrA+0:vgprGlobalReadAddrA+0+1], off, offset:0 // load one global value
s_or_saveexec_b64 vcc, s[0:1]                      // all threads active
_v_add_co_u32 v[vgprGlobalReadAddrA+0+0], vcc, v[vgprGlobalReadAddrA+0+0], v177 // gra += 1 (lower)
_v_addc_co_u32 v[vgprGlobalReadAddrA+0+1], vcc, v[vgprGlobalReadAddrA+0+1], v180, vcc // gra += 1 (upper)
	;; [unrolled: 6-line block ×16, first 2 shown]


/* Update M0 for DTLDS */


	;; [unrolled: 1-line block ×3, first 2 shown]
/* global read b */

/* global addressing - max read address = Tensor2dSizeB */
s_mul_hi_u32 s1, s[sgprWorkGroup2], s[sgprStrideBK] // 64b tensorB size in elements
s_mul_i32 s0, s[sgprWorkGroup2], s[sgprStrideBK]   // 64b tensorB size in elements
s_add_u32 s0, s[sgprTensor2dSizeB], s0             // add Tensor2dSizeB
s_addc_u32 s1, s[sgprTensor2dSizeB+1], s1          // add Tensor2dSizeB
s_lshl_b64 s[0:1], s[0:1], 0x3                     // <- tensorB size in bytes
s_add_u32 s0, s30, s0                              // prepend address lower
s_addc_u32 s1, s31, s1                             // prepend address upper
v_mov_b32 v178, s0                                 // sgpr->vgpr
v_mov_b32 v179, s1                                 // sgpr->vgpr
s_mov_b64 s[0:1], 0xFFFFFFFFFFFFFFFF               // to restore all threads active
v_mov_b32 v177, 0x8                                // bpe*numElementsPerLoad
v_mov_b32 v180, 0x0                                // zero
/* g2l=0, load component 0 */
_v_cmpx_lt_u64 vcc, v[vgprGlobalReadAddrB+0:vgprGlobalReadAddrB+0+1], v[178:179] // addr < maxAddr
_global_load_b64 v[vgprG2LB+0+0:vgprG2LB+0+0+1], v[vgprGlobalReadAddrB+0:vgprGlobalReadAddrB+0+1], off, offset:0 // load one global value
s_or_saveexec_b64 vcc, s[0:1]                      // all threads active
_v_add_co_u32 v[vgprGlobalReadAddrB+0+0], vcc, v[vgprGlobalReadAddrB+0+0], v177 // gra += 1 (lower)
_v_addc_co_u32 v[vgprGlobalReadAddrB+0+1], vcc, v[vgprGlobalReadAddrB+0+1], v180, vcc // gra += 1 (upper)
/* g2l=0, load component 1 */
_v_cmpx_lt_u64 vcc, v[vgprGlobalReadAddrB+0:vgprGlobalReadAddrB+0+1], v[178:179] // addr < maxAddr
_global_load_b64 v[vgprG2LB+0+2:vgprG2LB+0+2+1], v[vgprGlobalReadAddrB+0:vgprGlobalReadAddrB+0+1], off, offset:0 // load one global value
s_or_saveexec_b64 vcc, s[0:1]                      // all threads active
_v_add_co_u32 v[vgprGlobalReadAddrB+0+0], vcc, v[vgprGlobalReadAddrB+0+0], v177 // gra += 1 (lower)
_v_addc_co_u32 v[vgprGlobalReadAddrB+0+1], vcc, v[vgprGlobalReadAddrB+0+1], v180, vcc // gra += 1 (upper)
	;; [unrolled: 6-line block ×8, first 2 shown]

s_waitcnt vmcnt(0)                                 // lgkmcnt=-1 vmcnt=02wait for global read

// Skip force waitcnt0
s_barrier //


/* Done global A/B reads */


	;; [unrolled: 1-line block ×4, first 2 shown]
/* local write a */

_ds_store_b128 v[vgprLocalWriteAddrA], v[vgprG2LA+0:vgprG2LA+0+3] offset:0 // lwoA_0_0_0_0 = (0*LSCA)*(MT0I+PAD) + (0*LSPA) = 0
_ds_store_b128 v[vgprLocalWriteAddrA], v[vgprG2LA+4:vgprG2LA+4+3] offset:4608 // lwoA_0_0_1_0 = (0*LSCA)*(MT0I+PAD) + (1*LSPA) = 4608
_ds_store_b128 v[vgprLocalWriteAddrA], v[vgprG2LA+8:vgprG2LA+8+3] offset:9216 // lwoA_0_0_2_0 = (0*LSCA)*(MT0I+PAD) + (2*LSPA) = 9216
_ds_store_b128 v[vgprLocalWriteAddrA], v[vgprG2LA+12:vgprG2LA+12+3] offset:13824 // lwoA_0_0_3_0 = (0*LSCA)*(MT0I+PAD) + (3*LSPA) = 13824
_ds_store_b128 v[vgprLocalWriteAddrA], v[vgprG2LA+16:vgprG2LA+16+3] offset:18432 // lwoA_0_0_4_0 = (0*LSCA)*(MT0I+PAD) + (4*LSPA) = 18432
_ds_store_b128 v[vgprLocalWriteAddrA], v[vgprG2LA+20:vgprG2LA+20+3] offset:23040 // lwoA_0_0_5_0 = (0*LSCA)*(MT0I+PAD) + (5*LSPA) = 23040
_ds_store_b128 v[vgprLocalWriteAddrA], v[vgprG2LA+24:vgprG2LA+24+3] offset:27648 // lwoA_0_0_6_0 = (0*LSCA)*(MT0I+PAD) + (6*LSPA) = 27648
_ds_store_b128 v[vgprLocalWriteAddrA], v[vgprG2LA+28:vgprG2LA+28+3] offset:32256 // lwoA_0_0_7_0 = (0*LSCA)*(MT0I+PAD) + (7*LSPA) = 32256


/* local write b */

_ds_store_b128 v[vgprLocalWriteAddrB], v[vgprG2LB+0:vgprG2LB+0+3] offset:0 // lwoB_0_0_0_0 = (0*LSCB)*(MT1J+PAD) + (0*LSPB) = 0
_ds_store_b128 v[vgprLocalWriteAddrB], v[vgprG2LB+4:vgprG2LB+4+3] offset:4608 // lwoB_0_0_1_0 = (0*LSCB)*(MT1J+PAD) + (1*LSPB) = 4608
_ds_store_b128 v[vgprLocalWriteAddrB], v[vgprG2LB+8:vgprG2LB+8+3] offset:9216 // lwoB_0_0_2_0 = (0*LSCB)*(MT1J+PAD) + (2*LSPB) = 9216
_ds_store_b128 v[vgprLocalWriteAddrB], v[vgprG2LB+12:vgprG2LB+12+3] offset:13824 // lwoB_0_0_3_0 = (0*LSCB)*(MT1J+PAD) + (3*LSPB) = 13824


/* Recalc local read offsets */

/*lr0I*/
v_and_b32 v178, 63, v[vgprSerial]                  // 0. thread id in wave: wtid = tid % wavelength(64)
v_and_b32 v177, 15, v178                           // 1. N offset: nIdx = wtid % MI_N(16)
s_mov_b32 s0, 0x12                                 // 1. N offset: nOffset = nIdx * nStride(18)
v_mul_lo_u32 v177, s0, v177                        // 1. N offset: nOffset = nIdx * nStride(18)
                                                   // 2. block offset: bnIdx = bnIdx % num1DBlocks(1) is 0. do nothing
v_lshlrev_b32 v177, 0x1, v177                      // 4. apply VectorWidth: bnOffset = bnOffset * vw(2)
v_lshrrev_b32 v178, 4, v178                        // 5. K offset: kIdx = wtid / (MIN(16) * MIBB(1))
                                                   // 5. K offset: lrKOffset = kIdx * mStride(1) (multiplier is 1, do nothing)
_v_add_u32 v177, v178, v177                        // 6. offset in wave: lrOffset = bnOffset + lrKOffset
v_lshrrev_b32 v179, 6, v[vgprSerial]               // 7. wave offset in N dimen: wtid = tid / dividedForWaveId(64)
v_and_b32 v178, 3, v179                            // 7. wave offset in M dimen: wtid0 = wtid / num1DWaves(4)
s_mov_b32 s0, 0x240                                // 7. wave offset in M dimen: wOffset = wtid0 * W0Stride(576)
v_mul_lo_u32 v178, s0, v178                        // 7. wave offset in M dimen: wOffset = wtid0 * W0Stride(576)
_v_add_u32 v177, v178, v177                        // 8. final local read offset: flrOffset = lrOffset + WOffset
/*lr1J*/
v_and_b32 v179, 63, v[vgprSerial]                  // 0. thread id in wave: wtid = tid % wavelength(64)
v_and_b32 v178, 15, v179                           // 1. N offset: nIdx = wtid % MI_N(16)
s_mov_b32 s0, 0x12                                 // 1. N offset: nOffset = nIdx * nStride(18)
v_mul_lo_u32 v178, s0, v178                        // 1. N offset: nOffset = nIdx * nStride(18)
                                                   // 2. block offset: bnIdx = bnIdx % num1DBlocks(1) is 0. do nothing
                                                   // 4. apply VectorWidth: bnOffset = bnOffset * vw(1) (multiplier is 1, do nothing)
v_lshrrev_b32 v179, 4, v179                        // 5. K offset: kIdx = wtid / (MIN(16) * MIBB(1))
                                                   // 5. K offset: lrKOffset = kIdx * mStride(1) (multiplier is 1, do nothing)
_v_add_u32 v178, v179, v178                        // 6. offset in wave: lrOffset = bnOffset + lrKOffset
v_lshlrev_b32 v[vgprLocalReadAddrA], 0x3, v177     // Final Offset: offset = (lro0)*bpe
/* N/A */
v_lshlrev_b32 v[vgprLocalReadAddrB], 0x3, v178     // Final Offset: offset = (lro1)*bpe
_v_add_co_u32 v[vgprLocalReadAddrB+0], vcc, 0x9000, v[vgprLocalReadAddrB+0] //  += LdsOffsetB (lower)

s_waitcnt lgkmcnt(0)                               // lgkmcnt=0 vmcnt=-15wait for local write

// Skip force waitcnt0
s_barrier //


/* local read reset offsets a */


	;; [unrolled: 1-line block ×3, first 2 shown]
/* local read reset offsets b */


	;; [unrolled: 1-line block ×3, first 2 shown]
/* local read init pointers a */


/* localReadInitPointers */


/* local read init pointers b */


/* localReadInitPointers */


/* tail loop: macs */

TailLoopBeginL_6:


/* local read a */

_ds_load_b64 v[vgprValuA_X0_I0+0:vgprValuA_X0_I0+0+1], v[vgprLocalReadAddrA] offset:0 // L -> Reg lro=0 swapByteOffset=0 ti=128 vIdx=0 rIdx=0 oIdx=0 buffer=0 iui=0
_ds_load_b64 v[vgprValuA_X0_I0+2:vgprValuA_X0_I0+2+1], v[vgprLocalReadAddrA] offset:144 // L -> Reg lro=0 swapByteOffset=0 ti=128 vIdx=0 rIdx=0 oIdx=0 buffer=0 iui=0
	;; [unrolled: 1-line block ×4, first 2 shown]


/* local read b */

_ds_load_b64 v[vgprValuB_X0_I0+0:vgprValuB_X0_I0+0+1], v[vgprLocalReadAddrB] offset:0 // L -> Reg lro=0 swapByteOffset=0 ti=16 vIdx=0 rIdx=0 oIdx=0 buffer=0 iui=0
_ds_load_b64 v[vgprValuB_X0_I0+2:vgprValuB_X0_I0+2+1], v[vgprLocalReadAddrB] offset:2304 // L -> Reg lro=0 swapByteOffset=0 ti=16 vIdx=1 rIdx=0 oIdx=0 buffer=0 iui=0
	;; [unrolled: 1-line block ×8, first 2 shown]


/* local read inc a */

s_mov_b32 s0, 0x20                                 // inc
_v_add_co_u32 v[vgprLocalReadAddrA], vcc, s0, v[vgprLocalReadAddrA] // lrA += 32 (LSU*bpe)


/* local read inc b */

s_mov_b32 s0, 0x20                                 // inc
_v_add_co_u32 v[vgprLocalReadAddrB], vcc, s0, v[vgprLocalReadAddrB] // lrB += 32 (LSU*bpe)

s_waitcnt lgkmcnt(0)                               // lgkmcnt=0 vmcnt=-14wait for local read


	;; [unrolled: 1-line block ×3, first 2 shown]
/* tail loop mfma iter 0: numReadsIterCoalescedA=1, numReadsIterCoalescedB=1 */
v_and_b32 v177, 63, v[vgprSerial]                  // v177 = v[vgprSerial] % 64
v_lshrrev_b32 v177, 4, v177                        // v177 = v177 / 16
                                                   // v177 = v177 * 1 (multiplier is 1, do nothing)
v_cmp_ge_i32 s[24:25], v177, s[sgprLoopCounterL]   // check K index >= Size L
v_cndmask_b32 v[vgprValuA_X0_I0+0+0+0+0], v[vgprValuA_X0_I0+0+0+0+0], 0x0, s[24:25] // set 0 if K_idx >= sizeL
v_cndmask_b32 v[vgprValuA_X0_I0+2+0+0+0], v[vgprValuA_X0_I0+2+0+0+0], 0x0, s[24:25] // set 0 if K_idx >= sizeL
	;; [unrolled: 1-line block ×4, first 2 shown]
v_cndmask_b32 v[vgprValuB_X0_I0+0+0+0+0], v[vgprValuB_X0_I0+0+0+0+0], 0x0, s[24:25] // set 0 if K_idx >= sizeL
v_cndmask_b32 v[vgprValuB_X0_I0+2+0+0+0], v[vgprValuB_X0_I0+2+0+0+0], 0x0, s[24:25] // set 0 if K_idx >= sizeL
	;; [unrolled: 1-line block ×8, first 2 shown]
v_cndmask_b32 v[vgprValuA_X0_I0+0+0+0+1], v[vgprValuA_X0_I0+0+0+0+1], 0x0, s[24:25] // set 0 if K_idx >= sizeL
v_cndmask_b32 v[vgprValuA_X0_I0+2+0+0+1], v[vgprValuA_X0_I0+2+0+0+1], 0x0, s[24:25] // set 0 if K_idx >= sizeL
	;; [unrolled: 1-line block ×4, first 2 shown]
v_cndmask_b32 v[vgprValuB_X0_I0+0+0+0+1], v[vgprValuB_X0_I0+0+0+0+1], 0x0, s[24:25] // set 0 if K_idx >= sizeL
v_cndmask_b32 v[vgprValuB_X0_I0+2+0+0+1], v[vgprValuB_X0_I0+2+0+0+1], 0x0, s[24:25] // set 0 if K_idx >= sizeL
	;; [unrolled: 1-line block ×8, first 2 shown]
s_nop 1
v_mfma_f64_16x16x4f64 a[0+0:7+0], v[vgprValuB_X0_I0+0+0+0:vgprValuB_X0_I0+0+0+0+1], v[vgprValuA_X0_I0+0+0+0:vgprValuA_X0_I0+0+0+0+1], a[0:7]
v_mfma_f64_16x16x4f64 a[8+0:15+0], v[vgprValuB_X0_I0+0+0+0:vgprValuB_X0_I0+0+0+0+1], v[vgprValuA_X0_I0+2+0+0:vgprValuA_X0_I0+2+0+0+1], a[8:15]
	;; [unrolled: 1-line block ×32, first 2 shown]


/* closeLoop loopL finalLoop=1 tailLoop=1 */
s_sub_i32 s[sgprLoopCounterL], s[sgprLoopCounterL], 0x4 // dec counterL (tailLoop)
s_add_u32 s[sgprOrigLoopCounter], s[sgprOrigLoopCounter], 0x4 // inc counterL
s_cmp_le_i32 s[sgprLoopCounterL], 0x0              // counterL<=0
s_cbranch_scc0 TailLoopBeginL_6                    // restart LoopL
TailLoopEndL_7:

SkipTailLoopL_8:

Summation_End_18:
s_setprio 0                                        // optimization store
/* endSummation: add vgpr [0...174) to pool */
.set NumFullBlocks, UNDEF
.set WgmRemainder1, UNDEF
.set MagicNumberWgmRemainder1, UNDEF

/* Mapping of Acc register -> C Vgpr register */


	;; [unrolled: 1-line block ×3, first 2 shown]
/* not-LocalSplitU: global write indices */

/* computeStoreVgprs */
v_lshrrev_b32 v4, 6, v[vgprSerial]                 // v4 = v[vgprSerial] / 64
v_and_b32 v1, 63, v[vgprSerial]                    // v1 = v[vgprSerial] % 64
v_lshrrev_b32 v1, 4, v1                            // v1 = v1 / 16
                                                   // thread0 * continuous_output (multiplier is 1, do nothing)
v_lshrrev_b32 v5, 2, v4                            // v5 = v4 / 4
v_mul_lo_u32 v5, 0x10, v5                          // wave coordination offset 1
_v_add_lshl_u32 v1, v5, v1, 0                      // coordination 1 = vwb *(wave_id1 + tid1)
v_mul_lo_u32 v2, v1, s[sgprStrideC1J]              //  offset 1
v_mul_lo_u32 v3, v1, s[sgprStrideD1J]              //  offset 1
v_and_b32 v5, 3, v4                                // v5 = v4 % 4
v_mul_lo_u32 v5, 0x10, v5                          // wave coordination offset 0
v_and_b32 v0, 15, v[vgprSerial]                    // v0 = v[vgprSerial] % 16
_v_add_lshl_u32 v0, v5, v0, 1                      // coordination 0 = vwa *(wave_id0 + tid0)
s_mul_i32 s0, 256, s[sgprWorkGroup0]               // wgp0 * MT0
_v_add_u32 v0, s0, v0                              // coord 0 = (tid0/MI_m)*4 + waveG0*MIB_m + MT0*SG0
s_mul_i32 s0, 128, s[sgprWorkGroup1]               // wgp1 * MT1
_v_add_u32 v1, s0, v1                              // coord 1 = (tid0%MI_m) + waveG1*MIB_n + MT1*SG1


/* not-LocalSplitU: global write */

s_and_b32 s24, 255, s[sgprSizeI]                   // s24 = s[sgprSizeI] % 256
s_add_u32 s25, -0x1, s[sgprNumWorkGroups0]         // 
s_cmp_ge_u32 s[sgprWorkGroup0], s25                // wg0 >= nwg0-1 ?
s_cselect_b32 s24, s24, 0                          // set rMT0
s_cmpk_gt_u32 s24, 0x0                             // rMT0 > 0
s_cbranch_scc1 GW_B0_E1_24                         // jump if edges required
s_and_b32 s24, 127, s[sgprSizeJ]                   // s24 = s[sgprSizeJ] % 128
s_add_u32 s25, -0x1, s[sgprNumWorkGroups1]         // 
s_cmp_ge_u32 s[sgprWorkGroup1], s25                // wg1 >= nwg1-1
s_cselect_b32 s24, s24, 0                          // set rMT1
s_cmpk_gt_u32 s24, 0x0                             // rMT1 > 0
s_cbranch_scc1 GW_B0_E1_24                         // jump if edges required
GW_B0_E0_21:

/* edge=0, allocate 12 sgpr. perBatchTmpS=4 perBatchMaskS=0 perElementMaskS=4 elementsPerBatch=2 */
/* optSingleColVgpr=0 optSharedColVgpr=0 optSGPRUsage=None optSrdIncForRow=0 */
s_sleep 1 // optimization: sync and wait
s_barrier

/******************************************/
/* Global Write Alpha Batch #0 (d1,d0,vc1,vc0) = */
/*    (0,0,0,0:vw2:vaw:1); (0,1,0,0:vw2:vaw:1) */
/******************************************/

/* calc coords, apply mask, and issue loads (if necessary) */
/* (d1,vc1,d0,vc0)=(0,0,0,0) */
_v_add_lshl_u32 v6, v3, v0, 0x3                    // scaleToBpe: accumulate d0 lower and *= bpe into Cin addr
_buffer_load_b128 v[12:15], v6, s[sgprSrdD:sgprSrdD+3], 0, offen offset:0 // load D (atomic) bpm=16 vaw=1
/* (d1,vc1,d0,vc0)=(0,0,1,0) */
s_mov_b32 s50, 128                                 // coordOffset0 d0=1 vc0=0
_v_add_co_u32 v4, vcc, v0, s50                     // coord0.2: coord0 += d0*sg0*VW + vc0
_v_add_lshl_u32 v7, v3, v4, 0x3                    // scaleToBpe: accumulate d0 lower and *= bpe into Cin addr
_buffer_load_b128 v[28:31], v7, s[sgprSrdD:sgprSrdD+3], 0, offen offset:0 // load D (atomic) bpm=16 vaw=1
v_accvgpr_read_b32 v[vgprValuC+16], acc0 // copy acc to vreg[0]
v_accvgpr_read_b32 v[vgprValuC+17], acc1 // copy acc to vreg[1]
v_accvgpr_read_b32 v[vgprValuC+18], acc8 // copy acc to vreg[2]
v_accvgpr_read_b32 v[vgprValuC+19], acc9 // copy acc to vreg[3]
v_accvgpr_read_b32 v[vgprValuC+20], acc16 // copy acc to vreg[4]
v_accvgpr_read_b32 v[vgprValuC+21], acc17 // copy acc to vreg[5]
v_accvgpr_read_b32 v[vgprValuC+22], acc24 // copy acc to vreg[6]
v_accvgpr_read_b32 v[vgprValuC+23], acc25 // copy acc to vreg[7]
s_nop 1                                            // 2 wait states required before reading vgpr

/* rC *= alpha batchElements=[(0, 0, 0, 0), (0, 1, 0, 0)] */
v_mul_f64 v[vgprValuC+16:vgprValuC+16+1], s[sgprAlpha:sgprAlpha+1], v[vgprValuC+16:vgprValuC+16+1] // *= alpha
v_mul_f64 v[vgprValuC+18:vgprValuC+18+1], s[sgprAlpha:sgprAlpha+1], v[vgprValuC+18:vgprValuC+18+1] // *= alpha
	;; [unrolled: 1-line block ×4, first 2 shown]
s_waitcnt vmcnt(0)                                 // wait C (atomic)

/* issue first atomic writes */
v_mov_b32 v10, v12                                 // v_mov for reordering loaded data
v_mov_b32 v11, v13                                 // v_mov for reordering loaded data
v_add_f64 v[8:9], v[10:11], v[vgprValuC+16:vgprValuC+16+1] // desired value
_buffer_atomic_cmpswap_b64 v[8:11], v6, s[sgprSrdD:sgprSrdD+3] 0 offen offset:0 glc   // attempt write
v_add_f64 v[12:13], v[14:15], v[vgprValuC+18:vgprValuC+18+1] // desired value
_buffer_atomic_cmpswap_b64 v[12:15], v6, s[sgprSrdD:sgprSrdD+3] 0 offen offset:8 glc   // attempt write
v_mov_b32 v26, v28                                 // v_mov for reordering loaded data
v_mov_b32 v27, v29                                 // v_mov for reordering loaded data
v_add_f64 v[24:25], v[26:27], v[vgprValuC+20:vgprValuC+20+1] // desired value
_buffer_atomic_cmpswap_b64 v[24:27], v7, s[sgprSrdD:sgprSrdD+3] 0 offen offset:0 glc   // attempt write
v_add_f64 v[28:29], v[30:31], v[vgprValuC+22:vgprValuC+22+1] // desired value
_buffer_atomic_cmpswap_b64 v[28:31], v7, s[sgprSrdD:sgprSrdD+3] 0 offen offset:8 glc   // attempt write
s_waitcnt vmcnt(0)                                 // wait for atomic writes

/* check success of writes, update masks */
v_cmp_ne_u64 s[54:55], v[8:9], v[10:11]            // c read during atomic != c read during prior load
v_cmp_ne_u64 s[56:57], v[12:13], v[14:15]          // c read during atomic != c read during prior load
v_cmp_ne_u64 s[58:59], v[24:25], v[26:27]          // c read during atomic != c read during prior load
	;; [unrolled: 1-line block ×3, first 2 shown]

/* or masks to check for exit */
s_mov_b64 s[50:51], 0x0                            // empty mask
s_or_b64 s[50:51], s[54:55], s[50:51]              // or to add threads
s_or_b64 s[50:51], s[56:57], s[50:51]              // or to add threads
	;; [unrolled: 1-line block ×4, first 2 shown]
s_or_saveexec_b64 s[52:53], s[50:51]               // apply combined mask
s_cbranch_execz label_0032                         // if exec is zero skip loop

/* atomic CAS loop */
label_0031:

/* apply updated masks and issue writes again */
s_mov_b64 exec, s[54:55]                           // must try again
v_mov_b32 v10, v8                                  // dataV+2 = tmp (new original C)
v_mov_b32 v11, v9                                  // dataV+3 = tmp (new original C)
v_add_f64 v[8:9], v[10:11], v[vgprValuC+16:vgprValuC+16+1] // newC = rC + originalC
_buffer_atomic_cmpswap_b64 v[8:11], v6, s[sgprSrdD:sgprSrdD+3] 0 offen offset:0 glc   // attempt write
s_mov_b64 exec, s[56:57]                           // must try again
v_mov_b32 v14, v12                                 // dataV+2 = tmp (new original C)
v_mov_b32 v15, v13                                 // dataV+3 = tmp (new original C)
v_add_f64 v[12:13], v[14:15], v[vgprValuC+18:vgprValuC+18+1] // newC = rC + originalC
_buffer_atomic_cmpswap_b64 v[12:15], v6, s[sgprSrdD:sgprSrdD+3] 0 offen offset:8 glc   // attempt write
s_mov_b64 exec, s[58:59]                           // must try again
v_mov_b32 v26, v24                                 // dataV+2 = tmp (new original C)
v_mov_b32 v27, v25                                 // dataV+3 = tmp (new original C)
	;; [unrolled: 5-line block ×3, first 2 shown]
v_add_f64 v[28:29], v[30:31], v[vgprValuC+22:vgprValuC+22+1] // newC = rC + originalC
_buffer_atomic_cmpswap_b64 v[28:31], v7, s[sgprSrdD:sgprSrdD+3] 0 offen offset:8 glc   // attempt write
s_waitcnt vmcnt(0)                                 // wait for atomic writes

/* apply masks and check for success */
s_mov_b64 exec, s[54:55]                           // must try again
v_cmp_ne_u64 s[50:51], v[8:9], v[10:11]            // c read during atomic != c read during prior load
s_and_b64 s[54:55], s[50:51], s[54:55]             // inBounds & must try again
s_mov_b64 exec, s[56:57]                           // must try again
v_cmp_ne_u64 s[50:51], v[12:13], v[14:15]          // c read during atomic != c read during prior load
s_and_b64 s[56:57], s[50:51], s[56:57]             // inBounds & must try again
s_mov_b64 exec, s[58:59]                           // must try again
v_cmp_ne_u64 s[50:51], v[24:25], v[26:27]          // c read during atomic != c read during prior load
	;; [unrolled: 3-line block ×3, first 2 shown]
s_and_b64 s[60:61], s[50:51], s[60:61]             // inBounds & must try again

/* or masks to check for exit */
s_mov_b64 s[50:51], 0x0                            // empty mask
s_or_b64 s[50:51], s[54:55], s[50:51]              // or to add threads
s_or_b64 s[50:51], s[56:57], s[50:51]              // or to add threads
	;; [unrolled: 1-line block ×4, first 2 shown]
s_or_saveexec_b64 s[52:53], s[50:51]               // apply combined mask
s_cbranch_execnz label_0031                        // try again if not complete
label_0032:
s_mov_b64 exec, -1                                 // full mask -> exec
s_nop 0                                            // 1 wait state required when next inst writes vgprs held by previous dwordx4 store inst
/* optSingleColVgpr=0 optSharedColVgpr=0 optSGPRUsage=None optSrdIncForRow=0 */
s_sleep 1 // optimization: sync and wait
s_barrier

/******************************************/
/* Global Write Alpha Batch #1 (d1,d0,vc1,vc0) = */
/*    (1,0,0,0:vw2:vaw:1); (1,1,0,0:vw2:vaw:1) */
/******************************************/

/* calc coords, apply mask, and issue loads (if necessary) */
/* (d1,vc1,d0,vc0)=(1,0,0,0) */

/* Fix for UseInitialStridesCD, emitAddressSetupCode */
s_mul_i32 s50, s[sgprStrideC1J], 4                 // scale stride
_v_add_u32 v2, v2, s50                             // ROWINC- Move cinRowPtr to next row
s_mul_i32 s50, s[sgprStrideD1J], 4                 // scale stride
_v_add_u32 v3, v3, s50                             // Move coutRowPtr to next row
_v_add_lshl_u32 v6, v3, v0, 0x3                    // scaleToBpe: accumulate d0 lower and *= bpe into Cin addr
_buffer_load_b128 v[12:15], v6, s[sgprSrdD:sgprSrdD+3], 0, offen offset:0 // load D (atomic) bpm=16 vaw=1
/* (d1,vc1,d0,vc0)=(1,0,1,0) */
s_mov_b32 s50, 128                                 // coordOffset0 d0=1 vc0=0
_v_add_co_u32 v4, vcc, v0, s50                     // coord0.2: coord0 += d0*sg0*VW + vc0
_v_add_lshl_u32 v7, v3, v4, 0x3                    // scaleToBpe: accumulate d0 lower and *= bpe into Cin addr
_buffer_load_b128 v[28:31], v7, s[sgprSrdD:sgprSrdD+3], 0, offen offset:0 // load D (atomic) bpm=16 vaw=1
v_accvgpr_read_b32 v[vgprValuC+16], acc2 // copy acc to vreg[8]
v_accvgpr_read_b32 v[vgprValuC+17], acc3 // copy acc to vreg[9]
v_accvgpr_read_b32 v[vgprValuC+18], acc10 // copy acc to vreg[10]
v_accvgpr_read_b32 v[vgprValuC+19], acc11 // copy acc to vreg[11]
v_accvgpr_read_b32 v[vgprValuC+20], acc18 // copy acc to vreg[12]
v_accvgpr_read_b32 v[vgprValuC+21], acc19 // copy acc to vreg[13]
v_accvgpr_read_b32 v[vgprValuC+22], acc26 // copy acc to vreg[14]
v_accvgpr_read_b32 v[vgprValuC+23], acc27 // copy acc to vreg[15]
s_nop 1                                            // 2 wait states required before reading vgpr

/* rC *= alpha batchElements=[(1, 0, 0, 0), (1, 1, 0, 0)] */
v_mul_f64 v[vgprValuC+16:vgprValuC+16+1], s[sgprAlpha:sgprAlpha+1], v[vgprValuC+16:vgprValuC+16+1] // *= alpha
v_mul_f64 v[vgprValuC+18:vgprValuC+18+1], s[sgprAlpha:sgprAlpha+1], v[vgprValuC+18:vgprValuC+18+1] // *= alpha
	;; [unrolled: 1-line block ×4, first 2 shown]
s_waitcnt vmcnt(0)                                 // wait C (atomic)

/* issue first atomic writes */
v_mov_b32 v10, v12                                 // v_mov for reordering loaded data
v_mov_b32 v11, v13                                 // v_mov for reordering loaded data
v_add_f64 v[8:9], v[10:11], v[vgprValuC+16:vgprValuC+16+1] // desired value
_buffer_atomic_cmpswap_b64 v[8:11], v6, s[sgprSrdD:sgprSrdD+3] 0 offen offset:0 glc   // attempt write
v_add_f64 v[12:13], v[14:15], v[vgprValuC+18:vgprValuC+18+1] // desired value
_buffer_atomic_cmpswap_b64 v[12:15], v6, s[sgprSrdD:sgprSrdD+3] 0 offen offset:8 glc   // attempt write
v_mov_b32 v26, v28                                 // v_mov for reordering loaded data
v_mov_b32 v27, v29                                 // v_mov for reordering loaded data
v_add_f64 v[24:25], v[26:27], v[vgprValuC+20:vgprValuC+20+1] // desired value
_buffer_atomic_cmpswap_b64 v[24:27], v7, s[sgprSrdD:sgprSrdD+3] 0 offen offset:0 glc   // attempt write
v_add_f64 v[28:29], v[30:31], v[vgprValuC+22:vgprValuC+22+1] // desired value
_buffer_atomic_cmpswap_b64 v[28:31], v7, s[sgprSrdD:sgprSrdD+3] 0 offen offset:8 glc   // attempt write
s_waitcnt vmcnt(0)                                 // wait for atomic writes

/* check success of writes, update masks */
v_cmp_ne_u64 s[54:55], v[8:9], v[10:11]            // c read during atomic != c read during prior load
v_cmp_ne_u64 s[56:57], v[12:13], v[14:15]          // c read during atomic != c read during prior load
v_cmp_ne_u64 s[58:59], v[24:25], v[26:27]          // c read during atomic != c read during prior load
	;; [unrolled: 1-line block ×3, first 2 shown]

/* or masks to check for exit */
s_mov_b64 s[50:51], 0x0                            // empty mask
s_or_b64 s[50:51], s[54:55], s[50:51]              // or to add threads
s_or_b64 s[50:51], s[56:57], s[50:51]              // or to add threads
	;; [unrolled: 1-line block ×4, first 2 shown]
s_or_saveexec_b64 s[52:53], s[50:51]               // apply combined mask
s_cbranch_execz label_0034                         // if exec is zero skip loop

/* atomic CAS loop */
label_0033:

/* apply updated masks and issue writes again */
s_mov_b64 exec, s[54:55]                           // must try again
v_mov_b32 v10, v8                                  // dataV+2 = tmp (new original C)
v_mov_b32 v11, v9                                  // dataV+3 = tmp (new original C)
v_add_f64 v[8:9], v[10:11], v[vgprValuC+16:vgprValuC+16+1] // newC = rC + originalC
_buffer_atomic_cmpswap_b64 v[8:11], v6, s[sgprSrdD:sgprSrdD+3] 0 offen offset:0 glc   // attempt write
s_mov_b64 exec, s[56:57]                           // must try again
v_mov_b32 v14, v12                                 // dataV+2 = tmp (new original C)
v_mov_b32 v15, v13                                 // dataV+3 = tmp (new original C)
v_add_f64 v[12:13], v[14:15], v[vgprValuC+18:vgprValuC+18+1] // newC = rC + originalC
_buffer_atomic_cmpswap_b64 v[12:15], v6, s[sgprSrdD:sgprSrdD+3] 0 offen offset:8 glc   // attempt write
s_mov_b64 exec, s[58:59]                           // must try again
v_mov_b32 v26, v24                                 // dataV+2 = tmp (new original C)
v_mov_b32 v27, v25                                 // dataV+3 = tmp (new original C)
	;; [unrolled: 5-line block ×3, first 2 shown]
v_add_f64 v[28:29], v[30:31], v[vgprValuC+22:vgprValuC+22+1] // newC = rC + originalC
_buffer_atomic_cmpswap_b64 v[28:31], v7, s[sgprSrdD:sgprSrdD+3] 0 offen offset:8 glc   // attempt write
s_waitcnt vmcnt(0)                                 // wait for atomic writes

/* apply masks and check for success */
s_mov_b64 exec, s[54:55]                           // must try again
v_cmp_ne_u64 s[50:51], v[8:9], v[10:11]            // c read during atomic != c read during prior load
s_and_b64 s[54:55], s[50:51], s[54:55]             // inBounds & must try again
s_mov_b64 exec, s[56:57]                           // must try again
v_cmp_ne_u64 s[50:51], v[12:13], v[14:15]          // c read during atomic != c read during prior load
s_and_b64 s[56:57], s[50:51], s[56:57]             // inBounds & must try again
s_mov_b64 exec, s[58:59]                           // must try again
v_cmp_ne_u64 s[50:51], v[24:25], v[26:27]          // c read during atomic != c read during prior load
	;; [unrolled: 3-line block ×3, first 2 shown]
s_and_b64 s[60:61], s[50:51], s[60:61]             // inBounds & must try again

/* or masks to check for exit */
s_mov_b64 s[50:51], 0x0                            // empty mask
s_or_b64 s[50:51], s[54:55], s[50:51]              // or to add threads
s_or_b64 s[50:51], s[56:57], s[50:51]              // or to add threads
s_or_b64 s[50:51], s[58:59], s[50:51]              // or to add threads
s_or_b64 s[50:51], s[60:61], s[50:51]              // or to add threads
s_or_saveexec_b64 s[52:53], s[50:51]               // apply combined mask
s_cbranch_execnz label_0033                        // try again if not complete
label_0034:
s_mov_b64 exec, -1                                 // full mask -> exec
s_nop 0                                            // 1 wait state required when next inst writes vgprs held by previous dwordx4 store inst
/* optSingleColVgpr=0 optSharedColVgpr=0 optSGPRUsage=None optSrdIncForRow=0 */
s_sleep 1 // optimization: sync and wait
s_barrier

/******************************************/
/* Global Write Alpha Batch #2 (d1,d0,vc1,vc0) = */
/*    (2,0,0,0:vw2:vaw:1); (2,1,0,0:vw2:vaw:1) */
/******************************************/

/* calc coords, apply mask, and issue loads (if necessary) */
/* (d1,vc1,d0,vc0)=(2,0,0,0) */

/* Fix for UseInitialStridesCD, emitAddressSetupCode */
s_mul_i32 s50, s[sgprStrideC1J], 4                 // scale stride
_v_add_u32 v2, v2, s50                             // ROWINC- Move cinRowPtr to next row
s_mul_i32 s50, s[sgprStrideD1J], 4                 // scale stride
_v_add_u32 v3, v3, s50                             // Move coutRowPtr to next row
_v_add_lshl_u32 v6, v3, v0, 0x3                    // scaleToBpe: accumulate d0 lower and *= bpe into Cin addr
_buffer_load_b128 v[12:15], v6, s[sgprSrdD:sgprSrdD+3], 0, offen offset:0 // load D (atomic) bpm=16 vaw=1
/* (d1,vc1,d0,vc0)=(2,0,1,0) */
s_mov_b32 s50, 128                                 // coordOffset0 d0=1 vc0=0
_v_add_co_u32 v4, vcc, v0, s50                     // coord0.2: coord0 += d0*sg0*VW + vc0
_v_add_lshl_u32 v7, v3, v4, 0x3                    // scaleToBpe: accumulate d0 lower and *= bpe into Cin addr
_buffer_load_b128 v[28:31], v7, s[sgprSrdD:sgprSrdD+3], 0, offen offset:0 // load D (atomic) bpm=16 vaw=1
v_accvgpr_read_b32 v[vgprValuC+16], acc4 // copy acc to vreg[16]
v_accvgpr_read_b32 v[vgprValuC+17], acc5 // copy acc to vreg[17]
v_accvgpr_read_b32 v[vgprValuC+18], acc12 // copy acc to vreg[18]
v_accvgpr_read_b32 v[vgprValuC+19], acc13 // copy acc to vreg[19]
v_accvgpr_read_b32 v[vgprValuC+20], acc20 // copy acc to vreg[20]
v_accvgpr_read_b32 v[vgprValuC+21], acc21 // copy acc to vreg[21]
v_accvgpr_read_b32 v[vgprValuC+22], acc28 // copy acc to vreg[22]
v_accvgpr_read_b32 v[vgprValuC+23], acc29 // copy acc to vreg[23]
s_nop 1                                            // 2 wait states required before reading vgpr

/* rC *= alpha batchElements=[(2, 0, 0, 0), (2, 1, 0, 0)] */
v_mul_f64 v[vgprValuC+16:vgprValuC+16+1], s[sgprAlpha:sgprAlpha+1], v[vgprValuC+16:vgprValuC+16+1] // *= alpha
v_mul_f64 v[vgprValuC+18:vgprValuC+18+1], s[sgprAlpha:sgprAlpha+1], v[vgprValuC+18:vgprValuC+18+1] // *= alpha
	;; [unrolled: 1-line block ×4, first 2 shown]
s_waitcnt vmcnt(0)                                 // wait C (atomic)

/* issue first atomic writes */
v_mov_b32 v10, v12                                 // v_mov for reordering loaded data
v_mov_b32 v11, v13                                 // v_mov for reordering loaded data
v_add_f64 v[8:9], v[10:11], v[vgprValuC+16:vgprValuC+16+1] // desired value
_buffer_atomic_cmpswap_b64 v[8:11], v6, s[sgprSrdD:sgprSrdD+3] 0 offen offset:0 glc   // attempt write
v_add_f64 v[12:13], v[14:15], v[vgprValuC+18:vgprValuC+18+1] // desired value
_buffer_atomic_cmpswap_b64 v[12:15], v6, s[sgprSrdD:sgprSrdD+3] 0 offen offset:8 glc   // attempt write
v_mov_b32 v26, v28                                 // v_mov for reordering loaded data
v_mov_b32 v27, v29                                 // v_mov for reordering loaded data
v_add_f64 v[24:25], v[26:27], v[vgprValuC+20:vgprValuC+20+1] // desired value
_buffer_atomic_cmpswap_b64 v[24:27], v7, s[sgprSrdD:sgprSrdD+3] 0 offen offset:0 glc   // attempt write
v_add_f64 v[28:29], v[30:31], v[vgprValuC+22:vgprValuC+22+1] // desired value
_buffer_atomic_cmpswap_b64 v[28:31], v7, s[sgprSrdD:sgprSrdD+3] 0 offen offset:8 glc   // attempt write
s_waitcnt vmcnt(0)                                 // wait for atomic writes

/* check success of writes, update masks */
v_cmp_ne_u64 s[54:55], v[8:9], v[10:11]            // c read during atomic != c read during prior load
v_cmp_ne_u64 s[56:57], v[12:13], v[14:15]          // c read during atomic != c read during prior load
v_cmp_ne_u64 s[58:59], v[24:25], v[26:27]          // c read during atomic != c read during prior load
	;; [unrolled: 1-line block ×3, first 2 shown]

/* or masks to check for exit */
s_mov_b64 s[50:51], 0x0                            // empty mask
s_or_b64 s[50:51], s[54:55], s[50:51]              // or to add threads
s_or_b64 s[50:51], s[56:57], s[50:51]              // or to add threads
	;; [unrolled: 1-line block ×4, first 2 shown]
s_or_saveexec_b64 s[52:53], s[50:51]               // apply combined mask
s_cbranch_execz label_0036                         // if exec is zero skip loop

/* atomic CAS loop */
label_0035:

/* apply updated masks and issue writes again */
s_mov_b64 exec, s[54:55]                           // must try again
v_mov_b32 v10, v8                                  // dataV+2 = tmp (new original C)
v_mov_b32 v11, v9                                  // dataV+3 = tmp (new original C)
v_add_f64 v[8:9], v[10:11], v[vgprValuC+16:vgprValuC+16+1] // newC = rC + originalC
_buffer_atomic_cmpswap_b64 v[8:11], v6, s[sgprSrdD:sgprSrdD+3] 0 offen offset:0 glc   // attempt write
s_mov_b64 exec, s[56:57]                           // must try again
v_mov_b32 v14, v12                                 // dataV+2 = tmp (new original C)
v_mov_b32 v15, v13                                 // dataV+3 = tmp (new original C)
v_add_f64 v[12:13], v[14:15], v[vgprValuC+18:vgprValuC+18+1] // newC = rC + originalC
_buffer_atomic_cmpswap_b64 v[12:15], v6, s[sgprSrdD:sgprSrdD+3] 0 offen offset:8 glc   // attempt write
s_mov_b64 exec, s[58:59]                           // must try again
v_mov_b32 v26, v24                                 // dataV+2 = tmp (new original C)
v_mov_b32 v27, v25                                 // dataV+3 = tmp (new original C)
	;; [unrolled: 5-line block ×3, first 2 shown]
v_add_f64 v[28:29], v[30:31], v[vgprValuC+22:vgprValuC+22+1] // newC = rC + originalC
_buffer_atomic_cmpswap_b64 v[28:31], v7, s[sgprSrdD:sgprSrdD+3] 0 offen offset:8 glc   // attempt write
s_waitcnt vmcnt(0)                                 // wait for atomic writes

/* apply masks and check for success */
s_mov_b64 exec, s[54:55]                           // must try again
v_cmp_ne_u64 s[50:51], v[8:9], v[10:11]            // c read during atomic != c read during prior load
s_and_b64 s[54:55], s[50:51], s[54:55]             // inBounds & must try again
s_mov_b64 exec, s[56:57]                           // must try again
v_cmp_ne_u64 s[50:51], v[12:13], v[14:15]          // c read during atomic != c read during prior load
s_and_b64 s[56:57], s[50:51], s[56:57]             // inBounds & must try again
s_mov_b64 exec, s[58:59]                           // must try again
v_cmp_ne_u64 s[50:51], v[24:25], v[26:27]          // c read during atomic != c read during prior load
	;; [unrolled: 3-line block ×3, first 2 shown]
s_and_b64 s[60:61], s[50:51], s[60:61]             // inBounds & must try again

/* or masks to check for exit */
s_mov_b64 s[50:51], 0x0                            // empty mask
s_or_b64 s[50:51], s[54:55], s[50:51]              // or to add threads
s_or_b64 s[50:51], s[56:57], s[50:51]              // or to add threads
	;; [unrolled: 1-line block ×4, first 2 shown]
s_or_saveexec_b64 s[52:53], s[50:51]               // apply combined mask
s_cbranch_execnz label_0035                        // try again if not complete
label_0036:
s_mov_b64 exec, -1                                 // full mask -> exec
s_nop 0                                            // 1 wait state required when next inst writes vgprs held by previous dwordx4 store inst
/* optSingleColVgpr=0 optSharedColVgpr=0 optSGPRUsage=None optSrdIncForRow=0 */
s_sleep 1 // optimization: sync and wait
s_barrier

/******************************************/
/* Global Write Alpha Batch #3 (d1,d0,vc1,vc0) = */
/*    (3,0,0,0:vw2:vaw:1); (3,1,0,0:vw2:vaw:1) */
/******************************************/

/* calc coords, apply mask, and issue loads (if necessary) */
/* (d1,vc1,d0,vc0)=(3,0,0,0) */

/* Fix for UseInitialStridesCD, emitAddressSetupCode */
s_mul_i32 s50, s[sgprStrideC1J], 4                 // scale stride
_v_add_u32 v2, v2, s50                             // ROWINC- Move cinRowPtr to next row
s_mul_i32 s50, s[sgprStrideD1J], 4                 // scale stride
_v_add_u32 v3, v3, s50                             // Move coutRowPtr to next row
_v_add_lshl_u32 v6, v3, v0, 0x3                    // scaleToBpe: accumulate d0 lower and *= bpe into Cin addr
_buffer_load_b128 v[12:15], v6, s[sgprSrdD:sgprSrdD+3], 0, offen offset:0 // load D (atomic) bpm=16 vaw=1
/* (d1,vc1,d0,vc0)=(3,0,1,0) */
s_mov_b32 s50, 128                                 // coordOffset0 d0=1 vc0=0
_v_add_co_u32 v4, vcc, v0, s50                     // coord0.2: coord0 += d0*sg0*VW + vc0
_v_add_lshl_u32 v7, v3, v4, 0x3                    // scaleToBpe: accumulate d0 lower and *= bpe into Cin addr
_buffer_load_b128 v[28:31], v7, s[sgprSrdD:sgprSrdD+3], 0, offen offset:0 // load D (atomic) bpm=16 vaw=1
v_accvgpr_read_b32 v[vgprValuC+16], acc6 // copy acc to vreg[24]
v_accvgpr_read_b32 v[vgprValuC+17], acc7 // copy acc to vreg[25]
v_accvgpr_read_b32 v[vgprValuC+18], acc14 // copy acc to vreg[26]
v_accvgpr_read_b32 v[vgprValuC+19], acc15 // copy acc to vreg[27]
v_accvgpr_read_b32 v[vgprValuC+20], acc22 // copy acc to vreg[28]
v_accvgpr_read_b32 v[vgprValuC+21], acc23 // copy acc to vreg[29]
v_accvgpr_read_b32 v[vgprValuC+22], acc30 // copy acc to vreg[30]
v_accvgpr_read_b32 v[vgprValuC+23], acc31 // copy acc to vreg[31]
s_nop 1                                            // 2 wait states required before reading vgpr

/* rC *= alpha batchElements=[(3, 0, 0, 0), (3, 1, 0, 0)] */
v_mul_f64 v[vgprValuC+16:vgprValuC+16+1], s[sgprAlpha:sgprAlpha+1], v[vgprValuC+16:vgprValuC+16+1] // *= alpha
v_mul_f64 v[vgprValuC+18:vgprValuC+18+1], s[sgprAlpha:sgprAlpha+1], v[vgprValuC+18:vgprValuC+18+1] // *= alpha
	;; [unrolled: 1-line block ×4, first 2 shown]
s_waitcnt vmcnt(0)                                 // wait C (atomic)

/* issue first atomic writes */
v_mov_b32 v10, v12                                 // v_mov for reordering loaded data
v_mov_b32 v11, v13                                 // v_mov for reordering loaded data
v_add_f64 v[8:9], v[10:11], v[vgprValuC+16:vgprValuC+16+1] // desired value
_buffer_atomic_cmpswap_b64 v[8:11], v6, s[sgprSrdD:sgprSrdD+3] 0 offen offset:0 glc   // attempt write
v_add_f64 v[12:13], v[14:15], v[vgprValuC+18:vgprValuC+18+1] // desired value
_buffer_atomic_cmpswap_b64 v[12:15], v6, s[sgprSrdD:sgprSrdD+3] 0 offen offset:8 glc   // attempt write
v_mov_b32 v26, v28                                 // v_mov for reordering loaded data
v_mov_b32 v27, v29                                 // v_mov for reordering loaded data
v_add_f64 v[24:25], v[26:27], v[vgprValuC+20:vgprValuC+20+1] // desired value
_buffer_atomic_cmpswap_b64 v[24:27], v7, s[sgprSrdD:sgprSrdD+3] 0 offen offset:0 glc   // attempt write
v_add_f64 v[28:29], v[30:31], v[vgprValuC+22:vgprValuC+22+1] // desired value
_buffer_atomic_cmpswap_b64 v[28:31], v7, s[sgprSrdD:sgprSrdD+3] 0 offen offset:8 glc   // attempt write
s_waitcnt vmcnt(0)                                 // wait for atomic writes

/* check success of writes, update masks */
v_cmp_ne_u64 s[54:55], v[8:9], v[10:11]            // c read during atomic != c read during prior load
v_cmp_ne_u64 s[56:57], v[12:13], v[14:15]          // c read during atomic != c read during prior load
v_cmp_ne_u64 s[58:59], v[24:25], v[26:27]          // c read during atomic != c read during prior load
	;; [unrolled: 1-line block ×3, first 2 shown]

/* or masks to check for exit */
s_mov_b64 s[50:51], 0x0                            // empty mask
s_or_b64 s[50:51], s[54:55], s[50:51]              // or to add threads
s_or_b64 s[50:51], s[56:57], s[50:51]              // or to add threads
	;; [unrolled: 1-line block ×4, first 2 shown]
s_or_saveexec_b64 s[52:53], s[50:51]               // apply combined mask
s_cbranch_execz label_0038                         // if exec is zero skip loop

/* atomic CAS loop */
label_0037:

/* apply updated masks and issue writes again */
s_mov_b64 exec, s[54:55]                           // must try again
v_mov_b32 v10, v8                                  // dataV+2 = tmp (new original C)
v_mov_b32 v11, v9                                  // dataV+3 = tmp (new original C)
v_add_f64 v[8:9], v[10:11], v[vgprValuC+16:vgprValuC+16+1] // newC = rC + originalC
_buffer_atomic_cmpswap_b64 v[8:11], v6, s[sgprSrdD:sgprSrdD+3] 0 offen offset:0 glc   // attempt write
s_mov_b64 exec, s[56:57]                           // must try again
v_mov_b32 v14, v12                                 // dataV+2 = tmp (new original C)
v_mov_b32 v15, v13                                 // dataV+3 = tmp (new original C)
v_add_f64 v[12:13], v[14:15], v[vgprValuC+18:vgprValuC+18+1] // newC = rC + originalC
_buffer_atomic_cmpswap_b64 v[12:15], v6, s[sgprSrdD:sgprSrdD+3] 0 offen offset:8 glc   // attempt write
s_mov_b64 exec, s[58:59]                           // must try again
v_mov_b32 v26, v24                                 // dataV+2 = tmp (new original C)
v_mov_b32 v27, v25                                 // dataV+3 = tmp (new original C)
	;; [unrolled: 5-line block ×3, first 2 shown]
v_add_f64 v[28:29], v[30:31], v[vgprValuC+22:vgprValuC+22+1] // newC = rC + originalC
_buffer_atomic_cmpswap_b64 v[28:31], v7, s[sgprSrdD:sgprSrdD+3] 0 offen offset:8 glc   // attempt write
s_waitcnt vmcnt(0)                                 // wait for atomic writes

/* apply masks and check for success */
s_mov_b64 exec, s[54:55]                           // must try again
v_cmp_ne_u64 s[50:51], v[8:9], v[10:11]            // c read during atomic != c read during prior load
s_and_b64 s[54:55], s[50:51], s[54:55]             // inBounds & must try again
s_mov_b64 exec, s[56:57]                           // must try again
v_cmp_ne_u64 s[50:51], v[12:13], v[14:15]          // c read during atomic != c read during prior load
s_and_b64 s[56:57], s[50:51], s[56:57]             // inBounds & must try again
s_mov_b64 exec, s[58:59]                           // must try again
v_cmp_ne_u64 s[50:51], v[24:25], v[26:27]          // c read during atomic != c read during prior load
	;; [unrolled: 3-line block ×3, first 2 shown]
s_and_b64 s[60:61], s[50:51], s[60:61]             // inBounds & must try again

/* or masks to check for exit */
s_mov_b64 s[50:51], 0x0                            // empty mask
s_or_b64 s[50:51], s[54:55], s[50:51]              // or to add threads
s_or_b64 s[50:51], s[56:57], s[50:51]              // or to add threads
	;; [unrolled: 1-line block ×4, first 2 shown]
s_or_saveexec_b64 s[52:53], s[50:51]               // apply combined mask
s_cbranch_execnz label_0037                        // try again if not complete
label_0038:
s_mov_b64 exec, -1                                 // full mask -> exec
s_nop 0                                            // 1 wait state required when next inst writes vgprs held by previous dwordx4 store inst
/* optSingleColVgpr=0 optSharedColVgpr=0 optSGPRUsage=None optSrdIncForRow=0 */
s_sleep 1 // optimization: sync and wait
s_barrier

/******************************************/
/* Global Write Alpha Batch #4 (d1,d0,vc1,vc0) = */
/*    (4,0,0,0:vw2:vaw:1); (4,1,0,0:vw2:vaw:1) */
/******************************************/

/* calc coords, apply mask, and issue loads (if necessary) */
/* (d1,vc1,d0,vc0)=(4,0,0,0) */

/* Fix for UseInitialStridesCD, emitAddressSetupCode */
s_mul_i32 s50, s[sgprStrideC1J], 4                 // scale stride
_v_add_u32 v2, v2, s50                             // ROWINC- Move cinRowPtr to next row
s_mul_i32 s50, s[sgprStrideD1J], 4                 // scale stride
_v_add_u32 v3, v3, s50                             // Move coutRowPtr to next row
_v_add_lshl_u32 v6, v3, v0, 0x3                    // scaleToBpe: accumulate d0 lower and *= bpe into Cin addr
_buffer_load_b128 v[12:15], v6, s[sgprSrdD:sgprSrdD+3], 0, offen offset:0 // load D (atomic) bpm=16 vaw=1
/* (d1,vc1,d0,vc0)=(4,0,1,0) */
s_mov_b32 s50, 128                                 // coordOffset0 d0=1 vc0=0
_v_add_co_u32 v4, vcc, v0, s50                     // coord0.2: coord0 += d0*sg0*VW + vc0
_v_add_lshl_u32 v7, v3, v4, 0x3                    // scaleToBpe: accumulate d0 lower and *= bpe into Cin addr
_buffer_load_b128 v[28:31], v7, s[sgprSrdD:sgprSrdD+3], 0, offen offset:0 // load D (atomic) bpm=16 vaw=1
v_accvgpr_read_b32 v[vgprValuC+16], acc32 // copy acc to vreg[32]
v_accvgpr_read_b32 v[vgprValuC+17], acc33 // copy acc to vreg[33]
v_accvgpr_read_b32 v[vgprValuC+18], acc40 // copy acc to vreg[34]
v_accvgpr_read_b32 v[vgprValuC+19], acc41 // copy acc to vreg[35]
v_accvgpr_read_b32 v[vgprValuC+20], acc48 // copy acc to vreg[36]
v_accvgpr_read_b32 v[vgprValuC+21], acc49 // copy acc to vreg[37]
v_accvgpr_read_b32 v[vgprValuC+22], acc56 // copy acc to vreg[38]
v_accvgpr_read_b32 v[vgprValuC+23], acc57 // copy acc to vreg[39]
s_nop 1                                            // 2 wait states required before reading vgpr

/* rC *= alpha batchElements=[(4, 0, 0, 0), (4, 1, 0, 0)] */
v_mul_f64 v[vgprValuC+16:vgprValuC+16+1], s[sgprAlpha:sgprAlpha+1], v[vgprValuC+16:vgprValuC+16+1] // *= alpha
v_mul_f64 v[vgprValuC+18:vgprValuC+18+1], s[sgprAlpha:sgprAlpha+1], v[vgprValuC+18:vgprValuC+18+1] // *= alpha
v_mul_f64 v[vgprValuC+20:vgprValuC+20+1], s[sgprAlpha:sgprAlpha+1], v[vgprValuC+20:vgprValuC+20+1] // *= alpha
v_mul_f64 v[vgprValuC+22:vgprValuC+22+1], s[sgprAlpha:sgprAlpha+1], v[vgprValuC+22:vgprValuC+22+1] // *= alpha
s_waitcnt vmcnt(0)                                 // wait C (atomic)

/* issue first atomic writes */
v_mov_b32 v10, v12                                 // v_mov for reordering loaded data
v_mov_b32 v11, v13                                 // v_mov for reordering loaded data
v_add_f64 v[8:9], v[10:11], v[vgprValuC+16:vgprValuC+16+1] // desired value
_buffer_atomic_cmpswap_b64 v[8:11], v6, s[sgprSrdD:sgprSrdD+3] 0 offen offset:0 glc   // attempt write
v_add_f64 v[12:13], v[14:15], v[vgprValuC+18:vgprValuC+18+1] // desired value
_buffer_atomic_cmpswap_b64 v[12:15], v6, s[sgprSrdD:sgprSrdD+3] 0 offen offset:8 glc   // attempt write
v_mov_b32 v26, v28                                 // v_mov for reordering loaded data
v_mov_b32 v27, v29                                 // v_mov for reordering loaded data
v_add_f64 v[24:25], v[26:27], v[vgprValuC+20:vgprValuC+20+1] // desired value
_buffer_atomic_cmpswap_b64 v[24:27], v7, s[sgprSrdD:sgprSrdD+3] 0 offen offset:0 glc   // attempt write
v_add_f64 v[28:29], v[30:31], v[vgprValuC+22:vgprValuC+22+1] // desired value
_buffer_atomic_cmpswap_b64 v[28:31], v7, s[sgprSrdD:sgprSrdD+3] 0 offen offset:8 glc   // attempt write
s_waitcnt vmcnt(0)                                 // wait for atomic writes

/* check success of writes, update masks */
v_cmp_ne_u64 s[54:55], v[8:9], v[10:11]            // c read during atomic != c read during prior load
v_cmp_ne_u64 s[56:57], v[12:13], v[14:15]          // c read during atomic != c read during prior load
v_cmp_ne_u64 s[58:59], v[24:25], v[26:27]          // c read during atomic != c read during prior load
	;; [unrolled: 1-line block ×3, first 2 shown]

/* or masks to check for exit */
s_mov_b64 s[50:51], 0x0                            // empty mask
s_or_b64 s[50:51], s[54:55], s[50:51]              // or to add threads
s_or_b64 s[50:51], s[56:57], s[50:51]              // or to add threads
	;; [unrolled: 1-line block ×4, first 2 shown]
s_or_saveexec_b64 s[52:53], s[50:51]               // apply combined mask
s_cbranch_execz label_0040                         // if exec is zero skip loop

/* atomic CAS loop */
label_0039:

/* apply updated masks and issue writes again */
s_mov_b64 exec, s[54:55]                           // must try again
v_mov_b32 v10, v8                                  // dataV+2 = tmp (new original C)
v_mov_b32 v11, v9                                  // dataV+3 = tmp (new original C)
v_add_f64 v[8:9], v[10:11], v[vgprValuC+16:vgprValuC+16+1] // newC = rC + originalC
_buffer_atomic_cmpswap_b64 v[8:11], v6, s[sgprSrdD:sgprSrdD+3] 0 offen offset:0 glc   // attempt write
s_mov_b64 exec, s[56:57]                           // must try again
v_mov_b32 v14, v12                                 // dataV+2 = tmp (new original C)
v_mov_b32 v15, v13                                 // dataV+3 = tmp (new original C)
v_add_f64 v[12:13], v[14:15], v[vgprValuC+18:vgprValuC+18+1] // newC = rC + originalC
_buffer_atomic_cmpswap_b64 v[12:15], v6, s[sgprSrdD:sgprSrdD+3] 0 offen offset:8 glc   // attempt write
s_mov_b64 exec, s[58:59]                           // must try again
v_mov_b32 v26, v24                                 // dataV+2 = tmp (new original C)
v_mov_b32 v27, v25                                 // dataV+3 = tmp (new original C)
	;; [unrolled: 5-line block ×3, first 2 shown]
v_add_f64 v[28:29], v[30:31], v[vgprValuC+22:vgprValuC+22+1] // newC = rC + originalC
_buffer_atomic_cmpswap_b64 v[28:31], v7, s[sgprSrdD:sgprSrdD+3] 0 offen offset:8 glc   // attempt write
s_waitcnt vmcnt(0)                                 // wait for atomic writes

/* apply masks and check for success */
s_mov_b64 exec, s[54:55]                           // must try again
v_cmp_ne_u64 s[50:51], v[8:9], v[10:11]            // c read during atomic != c read during prior load
s_and_b64 s[54:55], s[50:51], s[54:55]             // inBounds & must try again
s_mov_b64 exec, s[56:57]                           // must try again
v_cmp_ne_u64 s[50:51], v[12:13], v[14:15]          // c read during atomic != c read during prior load
s_and_b64 s[56:57], s[50:51], s[56:57]             // inBounds & must try again
s_mov_b64 exec, s[58:59]                           // must try again
v_cmp_ne_u64 s[50:51], v[24:25], v[26:27]          // c read during atomic != c read during prior load
	;; [unrolled: 3-line block ×3, first 2 shown]
s_and_b64 s[60:61], s[50:51], s[60:61]             // inBounds & must try again

/* or masks to check for exit */
s_mov_b64 s[50:51], 0x0                            // empty mask
s_or_b64 s[50:51], s[54:55], s[50:51]              // or to add threads
s_or_b64 s[50:51], s[56:57], s[50:51]              // or to add threads
	;; [unrolled: 1-line block ×4, first 2 shown]
s_or_saveexec_b64 s[52:53], s[50:51]               // apply combined mask
s_cbranch_execnz label_0039                        // try again if not complete
label_0040:
s_mov_b64 exec, -1                                 // full mask -> exec
s_nop 0                                            // 1 wait state required when next inst writes vgprs held by previous dwordx4 store inst
/* optSingleColVgpr=0 optSharedColVgpr=0 optSGPRUsage=None optSrdIncForRow=0 */
s_sleep 1 // optimization: sync and wait
s_barrier

/******************************************/
/* Global Write Alpha Batch #5 (d1,d0,vc1,vc0) = */
/*    (5,0,0,0:vw2:vaw:1); (5,1,0,0:vw2:vaw:1) */
/******************************************/

/* calc coords, apply mask, and issue loads (if necessary) */
/* (d1,vc1,d0,vc0)=(5,0,0,0) */

/* Fix for UseInitialStridesCD, emitAddressSetupCode */
s_mul_i32 s50, s[sgprStrideC1J], 4                 // scale stride
_v_add_u32 v2, v2, s50                             // ROWINC- Move cinRowPtr to next row
s_mul_i32 s50, s[sgprStrideD1J], 4                 // scale stride
_v_add_u32 v3, v3, s50                             // Move coutRowPtr to next row
_v_add_lshl_u32 v6, v3, v0, 0x3                    // scaleToBpe: accumulate d0 lower and *= bpe into Cin addr
_buffer_load_b128 v[12:15], v6, s[sgprSrdD:sgprSrdD+3], 0, offen offset:0 // load D (atomic) bpm=16 vaw=1
/* (d1,vc1,d0,vc0)=(5,0,1,0) */
s_mov_b32 s50, 128                                 // coordOffset0 d0=1 vc0=0
_v_add_co_u32 v4, vcc, v0, s50                     // coord0.2: coord0 += d0*sg0*VW + vc0
_v_add_lshl_u32 v7, v3, v4, 0x3                    // scaleToBpe: accumulate d0 lower and *= bpe into Cin addr
_buffer_load_b128 v[28:31], v7, s[sgprSrdD:sgprSrdD+3], 0, offen offset:0 // load D (atomic) bpm=16 vaw=1
v_accvgpr_read_b32 v[vgprValuC+16], acc34 // copy acc to vreg[40]
v_accvgpr_read_b32 v[vgprValuC+17], acc35 // copy acc to vreg[41]
v_accvgpr_read_b32 v[vgprValuC+18], acc42 // copy acc to vreg[42]
v_accvgpr_read_b32 v[vgprValuC+19], acc43 // copy acc to vreg[43]
v_accvgpr_read_b32 v[vgprValuC+20], acc50 // copy acc to vreg[44]
v_accvgpr_read_b32 v[vgprValuC+21], acc51 // copy acc to vreg[45]
v_accvgpr_read_b32 v[vgprValuC+22], acc58 // copy acc to vreg[46]
v_accvgpr_read_b32 v[vgprValuC+23], acc59 // copy acc to vreg[47]
s_nop 1                                            // 2 wait states required before reading vgpr

/* rC *= alpha batchElements=[(5, 0, 0, 0), (5, 1, 0, 0)] */
v_mul_f64 v[vgprValuC+16:vgprValuC+16+1], s[sgprAlpha:sgprAlpha+1], v[vgprValuC+16:vgprValuC+16+1] // *= alpha
v_mul_f64 v[vgprValuC+18:vgprValuC+18+1], s[sgprAlpha:sgprAlpha+1], v[vgprValuC+18:vgprValuC+18+1] // *= alpha
	;; [unrolled: 1-line block ×4, first 2 shown]
s_waitcnt vmcnt(0)                                 // wait C (atomic)

/* issue first atomic writes */
v_mov_b32 v10, v12                                 // v_mov for reordering loaded data
v_mov_b32 v11, v13                                 // v_mov for reordering loaded data
v_add_f64 v[8:9], v[10:11], v[vgprValuC+16:vgprValuC+16+1] // desired value
_buffer_atomic_cmpswap_b64 v[8:11], v6, s[sgprSrdD:sgprSrdD+3] 0 offen offset:0 glc   // attempt write
v_add_f64 v[12:13], v[14:15], v[vgprValuC+18:vgprValuC+18+1] // desired value
_buffer_atomic_cmpswap_b64 v[12:15], v6, s[sgprSrdD:sgprSrdD+3] 0 offen offset:8 glc   // attempt write
v_mov_b32 v26, v28                                 // v_mov for reordering loaded data
v_mov_b32 v27, v29                                 // v_mov for reordering loaded data
v_add_f64 v[24:25], v[26:27], v[vgprValuC+20:vgprValuC+20+1] // desired value
_buffer_atomic_cmpswap_b64 v[24:27], v7, s[sgprSrdD:sgprSrdD+3] 0 offen offset:0 glc   // attempt write
v_add_f64 v[28:29], v[30:31], v[vgprValuC+22:vgprValuC+22+1] // desired value
_buffer_atomic_cmpswap_b64 v[28:31], v7, s[sgprSrdD:sgprSrdD+3] 0 offen offset:8 glc   // attempt write
s_waitcnt vmcnt(0)                                 // wait for atomic writes

/* check success of writes, update masks */
v_cmp_ne_u64 s[54:55], v[8:9], v[10:11]            // c read during atomic != c read during prior load
v_cmp_ne_u64 s[56:57], v[12:13], v[14:15]          // c read during atomic != c read during prior load
v_cmp_ne_u64 s[58:59], v[24:25], v[26:27]          // c read during atomic != c read during prior load
v_cmp_ne_u64 s[60:61], v[28:29], v[30:31]          // c read during atomic != c read during prior load

/* or masks to check for exit */
s_mov_b64 s[50:51], 0x0                            // empty mask
s_or_b64 s[50:51], s[54:55], s[50:51]              // or to add threads
s_or_b64 s[50:51], s[56:57], s[50:51]              // or to add threads
	;; [unrolled: 1-line block ×4, first 2 shown]
s_or_saveexec_b64 s[52:53], s[50:51]               // apply combined mask
s_cbranch_execz label_0042                         // if exec is zero skip loop

/* atomic CAS loop */
label_0041:

/* apply updated masks and issue writes again */
s_mov_b64 exec, s[54:55]                           // must try again
v_mov_b32 v10, v8                                  // dataV+2 = tmp (new original C)
v_mov_b32 v11, v9                                  // dataV+3 = tmp (new original C)
v_add_f64 v[8:9], v[10:11], v[vgprValuC+16:vgprValuC+16+1] // newC = rC + originalC
_buffer_atomic_cmpswap_b64 v[8:11], v6, s[sgprSrdD:sgprSrdD+3] 0 offen offset:0 glc   // attempt write
s_mov_b64 exec, s[56:57]                           // must try again
v_mov_b32 v14, v12                                 // dataV+2 = tmp (new original C)
v_mov_b32 v15, v13                                 // dataV+3 = tmp (new original C)
v_add_f64 v[12:13], v[14:15], v[vgprValuC+18:vgprValuC+18+1] // newC = rC + originalC
_buffer_atomic_cmpswap_b64 v[12:15], v6, s[sgprSrdD:sgprSrdD+3] 0 offen offset:8 glc   // attempt write
s_mov_b64 exec, s[58:59]                           // must try again
v_mov_b32 v26, v24                                 // dataV+2 = tmp (new original C)
v_mov_b32 v27, v25                                 // dataV+3 = tmp (new original C)
v_add_f64 v[24:25], v[26:27], v[vgprValuC+20:vgprValuC+20+1] // newC = rC + originalC
_buffer_atomic_cmpswap_b64 v[24:27], v7, s[sgprSrdD:sgprSrdD+3] 0 offen offset:0 glc   // attempt write
s_mov_b64 exec, s[60:61]                           // must try again
v_mov_b32 v30, v28                                 // dataV+2 = tmp (new original C)
v_mov_b32 v31, v29                                 // dataV+3 = tmp (new original C)
v_add_f64 v[28:29], v[30:31], v[vgprValuC+22:vgprValuC+22+1] // newC = rC + originalC
_buffer_atomic_cmpswap_b64 v[28:31], v7, s[sgprSrdD:sgprSrdD+3] 0 offen offset:8 glc   // attempt write
s_waitcnt vmcnt(0)                                 // wait for atomic writes

/* apply masks and check for success */
s_mov_b64 exec, s[54:55]                           // must try again
v_cmp_ne_u64 s[50:51], v[8:9], v[10:11]            // c read during atomic != c read during prior load
s_and_b64 s[54:55], s[50:51], s[54:55]             // inBounds & must try again
s_mov_b64 exec, s[56:57]                           // must try again
v_cmp_ne_u64 s[50:51], v[12:13], v[14:15]          // c read during atomic != c read during prior load
s_and_b64 s[56:57], s[50:51], s[56:57]             // inBounds & must try again
s_mov_b64 exec, s[58:59]                           // must try again
v_cmp_ne_u64 s[50:51], v[24:25], v[26:27]          // c read during atomic != c read during prior load
	;; [unrolled: 3-line block ×3, first 2 shown]
s_and_b64 s[60:61], s[50:51], s[60:61]             // inBounds & must try again

/* or masks to check for exit */
s_mov_b64 s[50:51], 0x0                            // empty mask
s_or_b64 s[50:51], s[54:55], s[50:51]              // or to add threads
s_or_b64 s[50:51], s[56:57], s[50:51]              // or to add threads
s_or_b64 s[50:51], s[58:59], s[50:51]              // or to add threads
s_or_b64 s[50:51], s[60:61], s[50:51]              // or to add threads
s_or_saveexec_b64 s[52:53], s[50:51]               // apply combined mask
s_cbranch_execnz label_0041                        // try again if not complete
label_0042:
s_mov_b64 exec, -1                                 // full mask -> exec
s_nop 0                                            // 1 wait state required when next inst writes vgprs held by previous dwordx4 store inst
/* optSingleColVgpr=0 optSharedColVgpr=0 optSGPRUsage=None optSrdIncForRow=0 */
s_sleep 1 // optimization: sync and wait
s_barrier

/******************************************/
/* Global Write Alpha Batch #6 (d1,d0,vc1,vc0) = */
/*    (6,0,0,0:vw2:vaw:1); (6,1,0,0:vw2:vaw:1) */
/******************************************/

/* calc coords, apply mask, and issue loads (if necessary) */
/* (d1,vc1,d0,vc0)=(6,0,0,0) */

/* Fix for UseInitialStridesCD, emitAddressSetupCode */
s_mul_i32 s50, s[sgprStrideC1J], 4                 // scale stride
_v_add_u32 v2, v2, s50                             // ROWINC- Move cinRowPtr to next row
s_mul_i32 s50, s[sgprStrideD1J], 4                 // scale stride
_v_add_u32 v3, v3, s50                             // Move coutRowPtr to next row
_v_add_lshl_u32 v6, v3, v0, 0x3                    // scaleToBpe: accumulate d0 lower and *= bpe into Cin addr
_buffer_load_b128 v[12:15], v6, s[sgprSrdD:sgprSrdD+3], 0, offen offset:0 // load D (atomic) bpm=16 vaw=1
/* (d1,vc1,d0,vc0)=(6,0,1,0) */
s_mov_b32 s50, 128                                 // coordOffset0 d0=1 vc0=0
_v_add_co_u32 v4, vcc, v0, s50                     // coord0.2: coord0 += d0*sg0*VW + vc0
_v_add_lshl_u32 v7, v3, v4, 0x3                    // scaleToBpe: accumulate d0 lower and *= bpe into Cin addr
_buffer_load_b128 v[28:31], v7, s[sgprSrdD:sgprSrdD+3], 0, offen offset:0 // load D (atomic) bpm=16 vaw=1
v_accvgpr_read_b32 v[vgprValuC+16], acc36 // copy acc to vreg[48]
v_accvgpr_read_b32 v[vgprValuC+17], acc37 // copy acc to vreg[49]
v_accvgpr_read_b32 v[vgprValuC+18], acc44 // copy acc to vreg[50]
v_accvgpr_read_b32 v[vgprValuC+19], acc45 // copy acc to vreg[51]
v_accvgpr_read_b32 v[vgprValuC+20], acc52 // copy acc to vreg[52]
v_accvgpr_read_b32 v[vgprValuC+21], acc53 // copy acc to vreg[53]
v_accvgpr_read_b32 v[vgprValuC+22], acc60 // copy acc to vreg[54]
v_accvgpr_read_b32 v[vgprValuC+23], acc61 // copy acc to vreg[55]
s_nop 1                                            // 2 wait states required before reading vgpr

/* rC *= alpha batchElements=[(6, 0, 0, 0), (6, 1, 0, 0)] */
v_mul_f64 v[vgprValuC+16:vgprValuC+16+1], s[sgprAlpha:sgprAlpha+1], v[vgprValuC+16:vgprValuC+16+1] // *= alpha
v_mul_f64 v[vgprValuC+18:vgprValuC+18+1], s[sgprAlpha:sgprAlpha+1], v[vgprValuC+18:vgprValuC+18+1] // *= alpha
	;; [unrolled: 1-line block ×4, first 2 shown]
s_waitcnt vmcnt(0)                                 // wait C (atomic)

/* issue first atomic writes */
v_mov_b32 v10, v12                                 // v_mov for reordering loaded data
v_mov_b32 v11, v13                                 // v_mov for reordering loaded data
v_add_f64 v[8:9], v[10:11], v[vgprValuC+16:vgprValuC+16+1] // desired value
_buffer_atomic_cmpswap_b64 v[8:11], v6, s[sgprSrdD:sgprSrdD+3] 0 offen offset:0 glc   // attempt write
v_add_f64 v[12:13], v[14:15], v[vgprValuC+18:vgprValuC+18+1] // desired value
_buffer_atomic_cmpswap_b64 v[12:15], v6, s[sgprSrdD:sgprSrdD+3] 0 offen offset:8 glc   // attempt write
v_mov_b32 v26, v28                                 // v_mov for reordering loaded data
v_mov_b32 v27, v29                                 // v_mov for reordering loaded data
v_add_f64 v[24:25], v[26:27], v[vgprValuC+20:vgprValuC+20+1] // desired value
_buffer_atomic_cmpswap_b64 v[24:27], v7, s[sgprSrdD:sgprSrdD+3] 0 offen offset:0 glc   // attempt write
v_add_f64 v[28:29], v[30:31], v[vgprValuC+22:vgprValuC+22+1] // desired value
_buffer_atomic_cmpswap_b64 v[28:31], v7, s[sgprSrdD:sgprSrdD+3] 0 offen offset:8 glc   // attempt write
s_waitcnt vmcnt(0)                                 // wait for atomic writes

/* check success of writes, update masks */
v_cmp_ne_u64 s[54:55], v[8:9], v[10:11]            // c read during atomic != c read during prior load
v_cmp_ne_u64 s[56:57], v[12:13], v[14:15]          // c read during atomic != c read during prior load
v_cmp_ne_u64 s[58:59], v[24:25], v[26:27]          // c read during atomic != c read during prior load
	;; [unrolled: 1-line block ×3, first 2 shown]

/* or masks to check for exit */
s_mov_b64 s[50:51], 0x0                            // empty mask
s_or_b64 s[50:51], s[54:55], s[50:51]              // or to add threads
s_or_b64 s[50:51], s[56:57], s[50:51]              // or to add threads
	;; [unrolled: 1-line block ×4, first 2 shown]
s_or_saveexec_b64 s[52:53], s[50:51]               // apply combined mask
s_cbranch_execz label_0044                         // if exec is zero skip loop

/* atomic CAS loop */
label_0043:

/* apply updated masks and issue writes again */
s_mov_b64 exec, s[54:55]                           // must try again
v_mov_b32 v10, v8                                  // dataV+2 = tmp (new original C)
v_mov_b32 v11, v9                                  // dataV+3 = tmp (new original C)
v_add_f64 v[8:9], v[10:11], v[vgprValuC+16:vgprValuC+16+1] // newC = rC + originalC
_buffer_atomic_cmpswap_b64 v[8:11], v6, s[sgprSrdD:sgprSrdD+3] 0 offen offset:0 glc   // attempt write
s_mov_b64 exec, s[56:57]                           // must try again
v_mov_b32 v14, v12                                 // dataV+2 = tmp (new original C)
v_mov_b32 v15, v13                                 // dataV+3 = tmp (new original C)
v_add_f64 v[12:13], v[14:15], v[vgprValuC+18:vgprValuC+18+1] // newC = rC + originalC
_buffer_atomic_cmpswap_b64 v[12:15], v6, s[sgprSrdD:sgprSrdD+3] 0 offen offset:8 glc   // attempt write
s_mov_b64 exec, s[58:59]                           // must try again
v_mov_b32 v26, v24                                 // dataV+2 = tmp (new original C)
v_mov_b32 v27, v25                                 // dataV+3 = tmp (new original C)
	;; [unrolled: 5-line block ×3, first 2 shown]
v_add_f64 v[28:29], v[30:31], v[vgprValuC+22:vgprValuC+22+1] // newC = rC + originalC
_buffer_atomic_cmpswap_b64 v[28:31], v7, s[sgprSrdD:sgprSrdD+3] 0 offen offset:8 glc   // attempt write
s_waitcnt vmcnt(0)                                 // wait for atomic writes

/* apply masks and check for success */
s_mov_b64 exec, s[54:55]                           // must try again
v_cmp_ne_u64 s[50:51], v[8:9], v[10:11]            // c read during atomic != c read during prior load
s_and_b64 s[54:55], s[50:51], s[54:55]             // inBounds & must try again
s_mov_b64 exec, s[56:57]                           // must try again
v_cmp_ne_u64 s[50:51], v[12:13], v[14:15]          // c read during atomic != c read during prior load
s_and_b64 s[56:57], s[50:51], s[56:57]             // inBounds & must try again
s_mov_b64 exec, s[58:59]                           // must try again
v_cmp_ne_u64 s[50:51], v[24:25], v[26:27]          // c read during atomic != c read during prior load
	;; [unrolled: 3-line block ×3, first 2 shown]
s_and_b64 s[60:61], s[50:51], s[60:61]             // inBounds & must try again

/* or masks to check for exit */
s_mov_b64 s[50:51], 0x0                            // empty mask
s_or_b64 s[50:51], s[54:55], s[50:51]              // or to add threads
s_or_b64 s[50:51], s[56:57], s[50:51]              // or to add threads
	;; [unrolled: 1-line block ×4, first 2 shown]
s_or_saveexec_b64 s[52:53], s[50:51]               // apply combined mask
s_cbranch_execnz label_0043                        // try again if not complete
label_0044:
s_mov_b64 exec, -1                                 // full mask -> exec
s_nop 0                                            // 1 wait state required when next inst writes vgprs held by previous dwordx4 store inst
/* optSingleColVgpr=0 optSharedColVgpr=0 optSGPRUsage=None optSrdIncForRow=0 */
s_sleep 1 // optimization: sync and wait
s_barrier

/******************************************/
/* Global Write Alpha Batch #7 (d1,d0,vc1,vc0) = */
/*    (7,0,0,0:vw2:vaw:1); (7,1,0,0:vw2:vaw:1) */
/******************************************/

/* calc coords, apply mask, and issue loads (if necessary) */
/* (d1,vc1,d0,vc0)=(7,0,0,0) */

/* Fix for UseInitialStridesCD, emitAddressSetupCode */
s_mul_i32 s50, s[sgprStrideC1J], 4                 // scale stride
_v_add_u32 v2, v2, s50                             // ROWINC- Move cinRowPtr to next row
s_mul_i32 s50, s[sgprStrideD1J], 4                 // scale stride
_v_add_u32 v3, v3, s50                             // Move coutRowPtr to next row
_v_add_lshl_u32 v6, v3, v0, 0x3                    // scaleToBpe: accumulate d0 lower and *= bpe into Cin addr
_buffer_load_b128 v[12:15], v6, s[sgprSrdD:sgprSrdD+3], 0, offen offset:0 // load D (atomic) bpm=16 vaw=1
/* (d1,vc1,d0,vc0)=(7,0,1,0) */
s_mov_b32 s50, 128                                 // coordOffset0 d0=1 vc0=0
_v_add_co_u32 v4, vcc, v0, s50                     // coord0.2: coord0 += d0*sg0*VW + vc0
_v_add_lshl_u32 v7, v3, v4, 0x3                    // scaleToBpe: accumulate d0 lower and *= bpe into Cin addr
_buffer_load_b128 v[28:31], v7, s[sgprSrdD:sgprSrdD+3], 0, offen offset:0 // load D (atomic) bpm=16 vaw=1
v_accvgpr_read_b32 v[vgprValuC+16], acc38 // copy acc to vreg[56]
v_accvgpr_read_b32 v[vgprValuC+17], acc39 // copy acc to vreg[57]
v_accvgpr_read_b32 v[vgprValuC+18], acc46 // copy acc to vreg[58]
v_accvgpr_read_b32 v[vgprValuC+19], acc47 // copy acc to vreg[59]
v_accvgpr_read_b32 v[vgprValuC+20], acc54 // copy acc to vreg[60]
v_accvgpr_read_b32 v[vgprValuC+21], acc55 // copy acc to vreg[61]
v_accvgpr_read_b32 v[vgprValuC+22], acc62 // copy acc to vreg[62]
v_accvgpr_read_b32 v[vgprValuC+23], acc63 // copy acc to vreg[63]
s_nop 1                                            // 2 wait states required before reading vgpr

/* rC *= alpha batchElements=[(7, 0, 0, 0), (7, 1, 0, 0)] */
v_mul_f64 v[vgprValuC+16:vgprValuC+16+1], s[sgprAlpha:sgprAlpha+1], v[vgprValuC+16:vgprValuC+16+1] // *= alpha
v_mul_f64 v[vgprValuC+18:vgprValuC+18+1], s[sgprAlpha:sgprAlpha+1], v[vgprValuC+18:vgprValuC+18+1] // *= alpha
	;; [unrolled: 1-line block ×4, first 2 shown]
s_waitcnt vmcnt(0)                                 // wait C (atomic)

/* issue first atomic writes */
v_mov_b32 v10, v12                                 // v_mov for reordering loaded data
v_mov_b32 v11, v13                                 // v_mov for reordering loaded data
v_add_f64 v[8:9], v[10:11], v[vgprValuC+16:vgprValuC+16+1] // desired value
_buffer_atomic_cmpswap_b64 v[8:11], v6, s[sgprSrdD:sgprSrdD+3] 0 offen offset:0 glc   // attempt write
v_add_f64 v[12:13], v[14:15], v[vgprValuC+18:vgprValuC+18+1] // desired value
_buffer_atomic_cmpswap_b64 v[12:15], v6, s[sgprSrdD:sgprSrdD+3] 0 offen offset:8 glc   // attempt write
v_mov_b32 v26, v28                                 // v_mov for reordering loaded data
v_mov_b32 v27, v29                                 // v_mov for reordering loaded data
v_add_f64 v[24:25], v[26:27], v[vgprValuC+20:vgprValuC+20+1] // desired value
_buffer_atomic_cmpswap_b64 v[24:27], v7, s[sgprSrdD:sgprSrdD+3] 0 offen offset:0 glc   // attempt write
v_add_f64 v[28:29], v[30:31], v[vgprValuC+22:vgprValuC+22+1] // desired value
_buffer_atomic_cmpswap_b64 v[28:31], v7, s[sgprSrdD:sgprSrdD+3] 0 offen offset:8 glc   // attempt write
s_waitcnt vmcnt(0)                                 // wait for atomic writes

/* check success of writes, update masks */
v_cmp_ne_u64 s[54:55], v[8:9], v[10:11]            // c read during atomic != c read during prior load
v_cmp_ne_u64 s[56:57], v[12:13], v[14:15]          // c read during atomic != c read during prior load
v_cmp_ne_u64 s[58:59], v[24:25], v[26:27]          // c read during atomic != c read during prior load
	;; [unrolled: 1-line block ×3, first 2 shown]

/* or masks to check for exit */
s_mov_b64 s[50:51], 0x0                            // empty mask
s_or_b64 s[50:51], s[54:55], s[50:51]              // or to add threads
s_or_b64 s[50:51], s[56:57], s[50:51]              // or to add threads
	;; [unrolled: 1-line block ×4, first 2 shown]
s_or_saveexec_b64 s[52:53], s[50:51]               // apply combined mask
s_cbranch_execz label_0046                         // if exec is zero skip loop

/* atomic CAS loop */
label_0045:

/* apply updated masks and issue writes again */
s_mov_b64 exec, s[54:55]                           // must try again
v_mov_b32 v10, v8                                  // dataV+2 = tmp (new original C)
v_mov_b32 v11, v9                                  // dataV+3 = tmp (new original C)
v_add_f64 v[8:9], v[10:11], v[vgprValuC+16:vgprValuC+16+1] // newC = rC + originalC
_buffer_atomic_cmpswap_b64 v[8:11], v6, s[sgprSrdD:sgprSrdD+3] 0 offen offset:0 glc   // attempt write
s_mov_b64 exec, s[56:57]                           // must try again
v_mov_b32 v14, v12                                 // dataV+2 = tmp (new original C)
v_mov_b32 v15, v13                                 // dataV+3 = tmp (new original C)
v_add_f64 v[12:13], v[14:15], v[vgprValuC+18:vgprValuC+18+1] // newC = rC + originalC
_buffer_atomic_cmpswap_b64 v[12:15], v6, s[sgprSrdD:sgprSrdD+3] 0 offen offset:8 glc   // attempt write
s_mov_b64 exec, s[58:59]                           // must try again
v_mov_b32 v26, v24                                 // dataV+2 = tmp (new original C)
v_mov_b32 v27, v25                                 // dataV+3 = tmp (new original C)
	;; [unrolled: 5-line block ×3, first 2 shown]
v_add_f64 v[28:29], v[30:31], v[vgprValuC+22:vgprValuC+22+1] // newC = rC + originalC
_buffer_atomic_cmpswap_b64 v[28:31], v7, s[sgprSrdD:sgprSrdD+3] 0 offen offset:8 glc   // attempt write
s_waitcnt vmcnt(0)                                 // wait for atomic writes

/* apply masks and check for success */
s_mov_b64 exec, s[54:55]                           // must try again
v_cmp_ne_u64 s[50:51], v[8:9], v[10:11]            // c read during atomic != c read during prior load
s_and_b64 s[54:55], s[50:51], s[54:55]             // inBounds & must try again
s_mov_b64 exec, s[56:57]                           // must try again
v_cmp_ne_u64 s[50:51], v[12:13], v[14:15]          // c read during atomic != c read during prior load
s_and_b64 s[56:57], s[50:51], s[56:57]             // inBounds & must try again
s_mov_b64 exec, s[58:59]                           // must try again
v_cmp_ne_u64 s[50:51], v[24:25], v[26:27]          // c read during atomic != c read during prior load
	;; [unrolled: 3-line block ×3, first 2 shown]
s_and_b64 s[60:61], s[50:51], s[60:61]             // inBounds & must try again

/* or masks to check for exit */
s_mov_b64 s[50:51], 0x0                            // empty mask
s_or_b64 s[50:51], s[54:55], s[50:51]              // or to add threads
s_or_b64 s[50:51], s[56:57], s[50:51]              // or to add threads
	;; [unrolled: 1-line block ×4, first 2 shown]
s_or_saveexec_b64 s[52:53], s[50:51]               // apply combined mask
s_cbranch_execnz label_0045                        // try again if not complete
label_0046:
s_mov_b64 exec, -1                                 // full mask -> exec
s_nop 0                                            // 1 wait state required when next inst writes vgprs held by previous dwordx4 store inst
/* optSingleColVgpr=0 optSharedColVgpr=0 optSGPRUsage=None optSrdIncForRow=0 */
s_sleep 1 // optimization: sync and wait
s_barrier

/******************************************/
/* Global Write Alpha Batch #8 (d1,d0,vc1,vc0) = */
/*    (8,0,0,0:vw2:vaw:1); (8,1,0,0:vw2:vaw:1) */
/******************************************/

/* calc coords, apply mask, and issue loads (if necessary) */
/* (d1,vc1,d0,vc0)=(8,0,0,0) */

/* Fix for UseInitialStridesCD, emitAddressSetupCode */
s_mul_i32 s50, s[sgprStrideC1J], 4                 // scale stride
_v_add_u32 v2, v2, s50                             // ROWINC- Move cinRowPtr to next row
s_mul_i32 s50, s[sgprStrideD1J], 4                 // scale stride
_v_add_u32 v3, v3, s50                             // Move coutRowPtr to next row
_v_add_lshl_u32 v6, v3, v0, 0x3                    // scaleToBpe: accumulate d0 lower and *= bpe into Cin addr
_buffer_load_b128 v[12:15], v6, s[sgprSrdD:sgprSrdD+3], 0, offen offset:0 // load D (atomic) bpm=16 vaw=1
/* (d1,vc1,d0,vc0)=(8,0,1,0) */
s_mov_b32 s50, 128                                 // coordOffset0 d0=1 vc0=0
_v_add_co_u32 v4, vcc, v0, s50                     // coord0.2: coord0 += d0*sg0*VW + vc0
_v_add_lshl_u32 v7, v3, v4, 0x3                    // scaleToBpe: accumulate d0 lower and *= bpe into Cin addr
_buffer_load_b128 v[28:31], v7, s[sgprSrdD:sgprSrdD+3], 0, offen offset:0 // load D (atomic) bpm=16 vaw=1
v_accvgpr_read_b32 v[vgprValuC+16], acc64 // copy acc to vreg[64]
v_accvgpr_read_b32 v[vgprValuC+17], acc65 // copy acc to vreg[65]
v_accvgpr_read_b32 v[vgprValuC+18], acc72 // copy acc to vreg[66]
v_accvgpr_read_b32 v[vgprValuC+19], acc73 // copy acc to vreg[67]
v_accvgpr_read_b32 v[vgprValuC+20], acc80 // copy acc to vreg[68]
v_accvgpr_read_b32 v[vgprValuC+21], acc81 // copy acc to vreg[69]
v_accvgpr_read_b32 v[vgprValuC+22], acc88 // copy acc to vreg[70]
v_accvgpr_read_b32 v[vgprValuC+23], acc89 // copy acc to vreg[71]
s_nop 1                                            // 2 wait states required before reading vgpr

/* rC *= alpha batchElements=[(8, 0, 0, 0), (8, 1, 0, 0)] */
v_mul_f64 v[vgprValuC+16:vgprValuC+16+1], s[sgprAlpha:sgprAlpha+1], v[vgprValuC+16:vgprValuC+16+1] // *= alpha
v_mul_f64 v[vgprValuC+18:vgprValuC+18+1], s[sgprAlpha:sgprAlpha+1], v[vgprValuC+18:vgprValuC+18+1] // *= alpha
	;; [unrolled: 1-line block ×4, first 2 shown]
s_waitcnt vmcnt(0)                                 // wait C (atomic)

/* issue first atomic writes */
v_mov_b32 v10, v12                                 // v_mov for reordering loaded data
v_mov_b32 v11, v13                                 // v_mov for reordering loaded data
v_add_f64 v[8:9], v[10:11], v[vgprValuC+16:vgprValuC+16+1] // desired value
_buffer_atomic_cmpswap_b64 v[8:11], v6, s[sgprSrdD:sgprSrdD+3] 0 offen offset:0 glc   // attempt write
v_add_f64 v[12:13], v[14:15], v[vgprValuC+18:vgprValuC+18+1] // desired value
_buffer_atomic_cmpswap_b64 v[12:15], v6, s[sgprSrdD:sgprSrdD+3] 0 offen offset:8 glc   // attempt write
v_mov_b32 v26, v28                                 // v_mov for reordering loaded data
v_mov_b32 v27, v29                                 // v_mov for reordering loaded data
v_add_f64 v[24:25], v[26:27], v[vgprValuC+20:vgprValuC+20+1] // desired value
_buffer_atomic_cmpswap_b64 v[24:27], v7, s[sgprSrdD:sgprSrdD+3] 0 offen offset:0 glc   // attempt write
v_add_f64 v[28:29], v[30:31], v[vgprValuC+22:vgprValuC+22+1] // desired value
_buffer_atomic_cmpswap_b64 v[28:31], v7, s[sgprSrdD:sgprSrdD+3] 0 offen offset:8 glc   // attempt write
s_waitcnt vmcnt(0)                                 // wait for atomic writes

/* check success of writes, update masks */
v_cmp_ne_u64 s[54:55], v[8:9], v[10:11]            // c read during atomic != c read during prior load
v_cmp_ne_u64 s[56:57], v[12:13], v[14:15]          // c read during atomic != c read during prior load
v_cmp_ne_u64 s[58:59], v[24:25], v[26:27]          // c read during atomic != c read during prior load
	;; [unrolled: 1-line block ×3, first 2 shown]

/* or masks to check for exit */
s_mov_b64 s[50:51], 0x0                            // empty mask
s_or_b64 s[50:51], s[54:55], s[50:51]              // or to add threads
s_or_b64 s[50:51], s[56:57], s[50:51]              // or to add threads
	;; [unrolled: 1-line block ×4, first 2 shown]
s_or_saveexec_b64 s[52:53], s[50:51]               // apply combined mask
s_cbranch_execz label_0048                         // if exec is zero skip loop

/* atomic CAS loop */
label_0047:

/* apply updated masks and issue writes again */
s_mov_b64 exec, s[54:55]                           // must try again
v_mov_b32 v10, v8                                  // dataV+2 = tmp (new original C)
v_mov_b32 v11, v9                                  // dataV+3 = tmp (new original C)
v_add_f64 v[8:9], v[10:11], v[vgprValuC+16:vgprValuC+16+1] // newC = rC + originalC
_buffer_atomic_cmpswap_b64 v[8:11], v6, s[sgprSrdD:sgprSrdD+3] 0 offen offset:0 glc   // attempt write
s_mov_b64 exec, s[56:57]                           // must try again
v_mov_b32 v14, v12                                 // dataV+2 = tmp (new original C)
v_mov_b32 v15, v13                                 // dataV+3 = tmp (new original C)
v_add_f64 v[12:13], v[14:15], v[vgprValuC+18:vgprValuC+18+1] // newC = rC + originalC
_buffer_atomic_cmpswap_b64 v[12:15], v6, s[sgprSrdD:sgprSrdD+3] 0 offen offset:8 glc   // attempt write
s_mov_b64 exec, s[58:59]                           // must try again
v_mov_b32 v26, v24                                 // dataV+2 = tmp (new original C)
v_mov_b32 v27, v25                                 // dataV+3 = tmp (new original C)
	;; [unrolled: 5-line block ×3, first 2 shown]
v_add_f64 v[28:29], v[30:31], v[vgprValuC+22:vgprValuC+22+1] // newC = rC + originalC
_buffer_atomic_cmpswap_b64 v[28:31], v7, s[sgprSrdD:sgprSrdD+3] 0 offen offset:8 glc   // attempt write
s_waitcnt vmcnt(0)                                 // wait for atomic writes

/* apply masks and check for success */
s_mov_b64 exec, s[54:55]                           // must try again
v_cmp_ne_u64 s[50:51], v[8:9], v[10:11]            // c read during atomic != c read during prior load
s_and_b64 s[54:55], s[50:51], s[54:55]             // inBounds & must try again
s_mov_b64 exec, s[56:57]                           // must try again
v_cmp_ne_u64 s[50:51], v[12:13], v[14:15]          // c read during atomic != c read during prior load
s_and_b64 s[56:57], s[50:51], s[56:57]             // inBounds & must try again
s_mov_b64 exec, s[58:59]                           // must try again
v_cmp_ne_u64 s[50:51], v[24:25], v[26:27]          // c read during atomic != c read during prior load
	;; [unrolled: 3-line block ×3, first 2 shown]
s_and_b64 s[60:61], s[50:51], s[60:61]             // inBounds & must try again

/* or masks to check for exit */
s_mov_b64 s[50:51], 0x0                            // empty mask
s_or_b64 s[50:51], s[54:55], s[50:51]              // or to add threads
s_or_b64 s[50:51], s[56:57], s[50:51]              // or to add threads
	;; [unrolled: 1-line block ×4, first 2 shown]
s_or_saveexec_b64 s[52:53], s[50:51]               // apply combined mask
s_cbranch_execnz label_0047                        // try again if not complete
label_0048:
s_mov_b64 exec, -1                                 // full mask -> exec
s_nop 0                                            // 1 wait state required when next inst writes vgprs held by previous dwordx4 store inst
/* optSingleColVgpr=0 optSharedColVgpr=0 optSGPRUsage=None optSrdIncForRow=0 */
s_sleep 1 // optimization: sync and wait
s_barrier

/******************************************/
/* Global Write Alpha Batch #9 (d1,d0,vc1,vc0) = */
/*    (9,0,0,0:vw2:vaw:1); (9,1,0,0:vw2:vaw:1) */
/******************************************/

/* calc coords, apply mask, and issue loads (if necessary) */
/* (d1,vc1,d0,vc0)=(9,0,0,0) */

/* Fix for UseInitialStridesCD, emitAddressSetupCode */
s_mul_i32 s50, s[sgprStrideC1J], 4                 // scale stride
_v_add_u32 v2, v2, s50                             // ROWINC- Move cinRowPtr to next row
s_mul_i32 s50, s[sgprStrideD1J], 4                 // scale stride
_v_add_u32 v3, v3, s50                             // Move coutRowPtr to next row
_v_add_lshl_u32 v6, v3, v0, 0x3                    // scaleToBpe: accumulate d0 lower and *= bpe into Cin addr
_buffer_load_b128 v[12:15], v6, s[sgprSrdD:sgprSrdD+3], 0, offen offset:0 // load D (atomic) bpm=16 vaw=1
/* (d1,vc1,d0,vc0)=(9,0,1,0) */
s_mov_b32 s50, 128                                 // coordOffset0 d0=1 vc0=0
_v_add_co_u32 v4, vcc, v0, s50                     // coord0.2: coord0 += d0*sg0*VW + vc0
_v_add_lshl_u32 v7, v3, v4, 0x3                    // scaleToBpe: accumulate d0 lower and *= bpe into Cin addr
_buffer_load_b128 v[28:31], v7, s[sgprSrdD:sgprSrdD+3], 0, offen offset:0 // load D (atomic) bpm=16 vaw=1
v_accvgpr_read_b32 v[vgprValuC+16], acc66 // copy acc to vreg[72]
v_accvgpr_read_b32 v[vgprValuC+17], acc67 // copy acc to vreg[73]
v_accvgpr_read_b32 v[vgprValuC+18], acc74 // copy acc to vreg[74]
v_accvgpr_read_b32 v[vgprValuC+19], acc75 // copy acc to vreg[75]
v_accvgpr_read_b32 v[vgprValuC+20], acc82 // copy acc to vreg[76]
v_accvgpr_read_b32 v[vgprValuC+21], acc83 // copy acc to vreg[77]
v_accvgpr_read_b32 v[vgprValuC+22], acc90 // copy acc to vreg[78]
v_accvgpr_read_b32 v[vgprValuC+23], acc91 // copy acc to vreg[79]
s_nop 1                                            // 2 wait states required before reading vgpr

/* rC *= alpha batchElements=[(9, 0, 0, 0), (9, 1, 0, 0)] */
v_mul_f64 v[vgprValuC+16:vgprValuC+16+1], s[sgprAlpha:sgprAlpha+1], v[vgprValuC+16:vgprValuC+16+1] // *= alpha
v_mul_f64 v[vgprValuC+18:vgprValuC+18+1], s[sgprAlpha:sgprAlpha+1], v[vgprValuC+18:vgprValuC+18+1] // *= alpha
	;; [unrolled: 1-line block ×4, first 2 shown]
s_waitcnt vmcnt(0)                                 // wait C (atomic)

/* issue first atomic writes */
v_mov_b32 v10, v12                                 // v_mov for reordering loaded data
v_mov_b32 v11, v13                                 // v_mov for reordering loaded data
v_add_f64 v[8:9], v[10:11], v[vgprValuC+16:vgprValuC+16+1] // desired value
_buffer_atomic_cmpswap_b64 v[8:11], v6, s[sgprSrdD:sgprSrdD+3] 0 offen offset:0 glc   // attempt write
v_add_f64 v[12:13], v[14:15], v[vgprValuC+18:vgprValuC+18+1] // desired value
_buffer_atomic_cmpswap_b64 v[12:15], v6, s[sgprSrdD:sgprSrdD+3] 0 offen offset:8 glc   // attempt write
v_mov_b32 v26, v28                                 // v_mov for reordering loaded data
v_mov_b32 v27, v29                                 // v_mov for reordering loaded data
v_add_f64 v[24:25], v[26:27], v[vgprValuC+20:vgprValuC+20+1] // desired value
_buffer_atomic_cmpswap_b64 v[24:27], v7, s[sgprSrdD:sgprSrdD+3] 0 offen offset:0 glc   // attempt write
v_add_f64 v[28:29], v[30:31], v[vgprValuC+22:vgprValuC+22+1] // desired value
_buffer_atomic_cmpswap_b64 v[28:31], v7, s[sgprSrdD:sgprSrdD+3] 0 offen offset:8 glc   // attempt write
s_waitcnt vmcnt(0)                                 // wait for atomic writes

/* check success of writes, update masks */
v_cmp_ne_u64 s[54:55], v[8:9], v[10:11]            // c read during atomic != c read during prior load
v_cmp_ne_u64 s[56:57], v[12:13], v[14:15]          // c read during atomic != c read during prior load
v_cmp_ne_u64 s[58:59], v[24:25], v[26:27]          // c read during atomic != c read during prior load
	;; [unrolled: 1-line block ×3, first 2 shown]

/* or masks to check for exit */
s_mov_b64 s[50:51], 0x0                            // empty mask
s_or_b64 s[50:51], s[54:55], s[50:51]              // or to add threads
s_or_b64 s[50:51], s[56:57], s[50:51]              // or to add threads
	;; [unrolled: 1-line block ×4, first 2 shown]
s_or_saveexec_b64 s[52:53], s[50:51]               // apply combined mask
s_cbranch_execz label_0050                         // if exec is zero skip loop

/* atomic CAS loop */
label_0049:

/* apply updated masks and issue writes again */
s_mov_b64 exec, s[54:55]                           // must try again
v_mov_b32 v10, v8                                  // dataV+2 = tmp (new original C)
v_mov_b32 v11, v9                                  // dataV+3 = tmp (new original C)
v_add_f64 v[8:9], v[10:11], v[vgprValuC+16:vgprValuC+16+1] // newC = rC + originalC
_buffer_atomic_cmpswap_b64 v[8:11], v6, s[sgprSrdD:sgprSrdD+3] 0 offen offset:0 glc   // attempt write
s_mov_b64 exec, s[56:57]                           // must try again
v_mov_b32 v14, v12                                 // dataV+2 = tmp (new original C)
v_mov_b32 v15, v13                                 // dataV+3 = tmp (new original C)
v_add_f64 v[12:13], v[14:15], v[vgprValuC+18:vgprValuC+18+1] // newC = rC + originalC
_buffer_atomic_cmpswap_b64 v[12:15], v6, s[sgprSrdD:sgprSrdD+3] 0 offen offset:8 glc   // attempt write
s_mov_b64 exec, s[58:59]                           // must try again
v_mov_b32 v26, v24                                 // dataV+2 = tmp (new original C)
v_mov_b32 v27, v25                                 // dataV+3 = tmp (new original C)
	;; [unrolled: 5-line block ×3, first 2 shown]
v_add_f64 v[28:29], v[30:31], v[vgprValuC+22:vgprValuC+22+1] // newC = rC + originalC
_buffer_atomic_cmpswap_b64 v[28:31], v7, s[sgprSrdD:sgprSrdD+3] 0 offen offset:8 glc   // attempt write
s_waitcnt vmcnt(0)                                 // wait for atomic writes

/* apply masks and check for success */
s_mov_b64 exec, s[54:55]                           // must try again
v_cmp_ne_u64 s[50:51], v[8:9], v[10:11]            // c read during atomic != c read during prior load
s_and_b64 s[54:55], s[50:51], s[54:55]             // inBounds & must try again
s_mov_b64 exec, s[56:57]                           // must try again
v_cmp_ne_u64 s[50:51], v[12:13], v[14:15]          // c read during atomic != c read during prior load
s_and_b64 s[56:57], s[50:51], s[56:57]             // inBounds & must try again
s_mov_b64 exec, s[58:59]                           // must try again
v_cmp_ne_u64 s[50:51], v[24:25], v[26:27]          // c read during atomic != c read during prior load
s_and_b64 s[58:59], s[50:51], s[58:59]             // inBounds & must try again
s_mov_b64 exec, s[60:61]                           // must try again
v_cmp_ne_u64 s[50:51], v[28:29], v[30:31]          // c read during atomic != c read during prior load
s_and_b64 s[60:61], s[50:51], s[60:61]             // inBounds & must try again

/* or masks to check for exit */
s_mov_b64 s[50:51], 0x0                            // empty mask
s_or_b64 s[50:51], s[54:55], s[50:51]              // or to add threads
s_or_b64 s[50:51], s[56:57], s[50:51]              // or to add threads
	;; [unrolled: 1-line block ×4, first 2 shown]
s_or_saveexec_b64 s[52:53], s[50:51]               // apply combined mask
s_cbranch_execnz label_0049                        // try again if not complete
label_0050:
s_mov_b64 exec, -1                                 // full mask -> exec
s_nop 0                                            // 1 wait state required when next inst writes vgprs held by previous dwordx4 store inst
/* optSingleColVgpr=0 optSharedColVgpr=0 optSGPRUsage=None optSrdIncForRow=0 */
s_sleep 1 // optimization: sync and wait
s_barrier

/******************************************/
/* Global Write Alpha Batch #10 (d1,d0,vc1,vc0) = */
/*    (10,0,0,0:vw2:vaw:1); (10,1,0,0:vw2:vaw:1) */
/******************************************/

/* calc coords, apply mask, and issue loads (if necessary) */
/* (d1,vc1,d0,vc0)=(10,0,0,0) */

/* Fix for UseInitialStridesCD, emitAddressSetupCode */
s_mul_i32 s50, s[sgprStrideC1J], 4                 // scale stride
_v_add_u32 v2, v2, s50                             // ROWINC- Move cinRowPtr to next row
s_mul_i32 s50, s[sgprStrideD1J], 4                 // scale stride
_v_add_u32 v3, v3, s50                             // Move coutRowPtr to next row
_v_add_lshl_u32 v6, v3, v0, 0x3                    // scaleToBpe: accumulate d0 lower and *= bpe into Cin addr
_buffer_load_b128 v[12:15], v6, s[sgprSrdD:sgprSrdD+3], 0, offen offset:0 // load D (atomic) bpm=16 vaw=1
/* (d1,vc1,d0,vc0)=(10,0,1,0) */
s_mov_b32 s50, 128                                 // coordOffset0 d0=1 vc0=0
_v_add_co_u32 v4, vcc, v0, s50                     // coord0.2: coord0 += d0*sg0*VW + vc0
_v_add_lshl_u32 v7, v3, v4, 0x3                    // scaleToBpe: accumulate d0 lower and *= bpe into Cin addr
_buffer_load_b128 v[28:31], v7, s[sgprSrdD:sgprSrdD+3], 0, offen offset:0 // load D (atomic) bpm=16 vaw=1
v_accvgpr_read_b32 v[vgprValuC+16], acc68 // copy acc to vreg[80]
v_accvgpr_read_b32 v[vgprValuC+17], acc69 // copy acc to vreg[81]
v_accvgpr_read_b32 v[vgprValuC+18], acc76 // copy acc to vreg[82]
v_accvgpr_read_b32 v[vgprValuC+19], acc77 // copy acc to vreg[83]
v_accvgpr_read_b32 v[vgprValuC+20], acc84 // copy acc to vreg[84]
v_accvgpr_read_b32 v[vgprValuC+21], acc85 // copy acc to vreg[85]
v_accvgpr_read_b32 v[vgprValuC+22], acc92 // copy acc to vreg[86]
v_accvgpr_read_b32 v[vgprValuC+23], acc93 // copy acc to vreg[87]
s_nop 1                                            // 2 wait states required before reading vgpr

/* rC *= alpha batchElements=[(10, 0, 0, 0), (10, 1, 0, 0)] */
v_mul_f64 v[vgprValuC+16:vgprValuC+16+1], s[sgprAlpha:sgprAlpha+1], v[vgprValuC+16:vgprValuC+16+1] // *= alpha
v_mul_f64 v[vgprValuC+18:vgprValuC+18+1], s[sgprAlpha:sgprAlpha+1], v[vgprValuC+18:vgprValuC+18+1] // *= alpha
	;; [unrolled: 1-line block ×4, first 2 shown]
s_waitcnt vmcnt(0)                                 // wait C (atomic)

/* issue first atomic writes */
v_mov_b32 v10, v12                                 // v_mov for reordering loaded data
v_mov_b32 v11, v13                                 // v_mov for reordering loaded data
v_add_f64 v[8:9], v[10:11], v[vgprValuC+16:vgprValuC+16+1] // desired value
_buffer_atomic_cmpswap_b64 v[8:11], v6, s[sgprSrdD:sgprSrdD+3] 0 offen offset:0 glc   // attempt write
v_add_f64 v[12:13], v[14:15], v[vgprValuC+18:vgprValuC+18+1] // desired value
_buffer_atomic_cmpswap_b64 v[12:15], v6, s[sgprSrdD:sgprSrdD+3] 0 offen offset:8 glc   // attempt write
v_mov_b32 v26, v28                                 // v_mov for reordering loaded data
v_mov_b32 v27, v29                                 // v_mov for reordering loaded data
v_add_f64 v[24:25], v[26:27], v[vgprValuC+20:vgprValuC+20+1] // desired value
_buffer_atomic_cmpswap_b64 v[24:27], v7, s[sgprSrdD:sgprSrdD+3] 0 offen offset:0 glc   // attempt write
v_add_f64 v[28:29], v[30:31], v[vgprValuC+22:vgprValuC+22+1] // desired value
_buffer_atomic_cmpswap_b64 v[28:31], v7, s[sgprSrdD:sgprSrdD+3] 0 offen offset:8 glc   // attempt write
s_waitcnt vmcnt(0)                                 // wait for atomic writes

/* check success of writes, update masks */
v_cmp_ne_u64 s[54:55], v[8:9], v[10:11]            // c read during atomic != c read during prior load
v_cmp_ne_u64 s[56:57], v[12:13], v[14:15]          // c read during atomic != c read during prior load
v_cmp_ne_u64 s[58:59], v[24:25], v[26:27]          // c read during atomic != c read during prior load
	;; [unrolled: 1-line block ×3, first 2 shown]

/* or masks to check for exit */
s_mov_b64 s[50:51], 0x0                            // empty mask
s_or_b64 s[50:51], s[54:55], s[50:51]              // or to add threads
s_or_b64 s[50:51], s[56:57], s[50:51]              // or to add threads
	;; [unrolled: 1-line block ×4, first 2 shown]
s_or_saveexec_b64 s[52:53], s[50:51]               // apply combined mask
s_cbranch_execz label_0052                         // if exec is zero skip loop

/* atomic CAS loop */
label_0051:

/* apply updated masks and issue writes again */
s_mov_b64 exec, s[54:55]                           // must try again
v_mov_b32 v10, v8                                  // dataV+2 = tmp (new original C)
v_mov_b32 v11, v9                                  // dataV+3 = tmp (new original C)
v_add_f64 v[8:9], v[10:11], v[vgprValuC+16:vgprValuC+16+1] // newC = rC + originalC
_buffer_atomic_cmpswap_b64 v[8:11], v6, s[sgprSrdD:sgprSrdD+3] 0 offen offset:0 glc   // attempt write
s_mov_b64 exec, s[56:57]                           // must try again
v_mov_b32 v14, v12                                 // dataV+2 = tmp (new original C)
v_mov_b32 v15, v13                                 // dataV+3 = tmp (new original C)
v_add_f64 v[12:13], v[14:15], v[vgprValuC+18:vgprValuC+18+1] // newC = rC + originalC
_buffer_atomic_cmpswap_b64 v[12:15], v6, s[sgprSrdD:sgprSrdD+3] 0 offen offset:8 glc   // attempt write
s_mov_b64 exec, s[58:59]                           // must try again
v_mov_b32 v26, v24                                 // dataV+2 = tmp (new original C)
v_mov_b32 v27, v25                                 // dataV+3 = tmp (new original C)
	;; [unrolled: 5-line block ×3, first 2 shown]
v_add_f64 v[28:29], v[30:31], v[vgprValuC+22:vgprValuC+22+1] // newC = rC + originalC
_buffer_atomic_cmpswap_b64 v[28:31], v7, s[sgprSrdD:sgprSrdD+3] 0 offen offset:8 glc   // attempt write
s_waitcnt vmcnt(0)                                 // wait for atomic writes

/* apply masks and check for success */
s_mov_b64 exec, s[54:55]                           // must try again
v_cmp_ne_u64 s[50:51], v[8:9], v[10:11]            // c read during atomic != c read during prior load
s_and_b64 s[54:55], s[50:51], s[54:55]             // inBounds & must try again
s_mov_b64 exec, s[56:57]                           // must try again
v_cmp_ne_u64 s[50:51], v[12:13], v[14:15]          // c read during atomic != c read during prior load
s_and_b64 s[56:57], s[50:51], s[56:57]             // inBounds & must try again
s_mov_b64 exec, s[58:59]                           // must try again
v_cmp_ne_u64 s[50:51], v[24:25], v[26:27]          // c read during atomic != c read during prior load
	;; [unrolled: 3-line block ×3, first 2 shown]
s_and_b64 s[60:61], s[50:51], s[60:61]             // inBounds & must try again

/* or masks to check for exit */
s_mov_b64 s[50:51], 0x0                            // empty mask
s_or_b64 s[50:51], s[54:55], s[50:51]              // or to add threads
s_or_b64 s[50:51], s[56:57], s[50:51]              // or to add threads
	;; [unrolled: 1-line block ×4, first 2 shown]
s_or_saveexec_b64 s[52:53], s[50:51]               // apply combined mask
s_cbranch_execnz label_0051                        // try again if not complete
label_0052:
s_mov_b64 exec, -1                                 // full mask -> exec
s_nop 0                                            // 1 wait state required when next inst writes vgprs held by previous dwordx4 store inst
/* optSingleColVgpr=0 optSharedColVgpr=0 optSGPRUsage=None optSrdIncForRow=0 */
s_sleep 1 // optimization: sync and wait
s_barrier

/******************************************/
/* Global Write Alpha Batch #11 (d1,d0,vc1,vc0) = */
/*    (11,0,0,0:vw2:vaw:1); (11,1,0,0:vw2:vaw:1) */
/******************************************/

/* calc coords, apply mask, and issue loads (if necessary) */
/* (d1,vc1,d0,vc0)=(11,0,0,0) */

/* Fix for UseInitialStridesCD, emitAddressSetupCode */
s_mul_i32 s50, s[sgprStrideC1J], 4                 // scale stride
_v_add_u32 v2, v2, s50                             // ROWINC- Move cinRowPtr to next row
s_mul_i32 s50, s[sgprStrideD1J], 4                 // scale stride
_v_add_u32 v3, v3, s50                             // Move coutRowPtr to next row
_v_add_lshl_u32 v6, v3, v0, 0x3                    // scaleToBpe: accumulate d0 lower and *= bpe into Cin addr
_buffer_load_b128 v[12:15], v6, s[sgprSrdD:sgprSrdD+3], 0, offen offset:0 // load D (atomic) bpm=16 vaw=1
/* (d1,vc1,d0,vc0)=(11,0,1,0) */
s_mov_b32 s50, 128                                 // coordOffset0 d0=1 vc0=0
_v_add_co_u32 v4, vcc, v0, s50                     // coord0.2: coord0 += d0*sg0*VW + vc0
_v_add_lshl_u32 v7, v3, v4, 0x3                    // scaleToBpe: accumulate d0 lower and *= bpe into Cin addr
_buffer_load_b128 v[28:31], v7, s[sgprSrdD:sgprSrdD+3], 0, offen offset:0 // load D (atomic) bpm=16 vaw=1
v_accvgpr_read_b32 v[vgprValuC+16], acc70 // copy acc to vreg[88]
v_accvgpr_read_b32 v[vgprValuC+17], acc71 // copy acc to vreg[89]
v_accvgpr_read_b32 v[vgprValuC+18], acc78 // copy acc to vreg[90]
v_accvgpr_read_b32 v[vgprValuC+19], acc79 // copy acc to vreg[91]
v_accvgpr_read_b32 v[vgprValuC+20], acc86 // copy acc to vreg[92]
v_accvgpr_read_b32 v[vgprValuC+21], acc87 // copy acc to vreg[93]
v_accvgpr_read_b32 v[vgprValuC+22], acc94 // copy acc to vreg[94]
v_accvgpr_read_b32 v[vgprValuC+23], acc95 // copy acc to vreg[95]
s_nop 1                                            // 2 wait states required before reading vgpr

/* rC *= alpha batchElements=[(11, 0, 0, 0), (11, 1, 0, 0)] */
v_mul_f64 v[vgprValuC+16:vgprValuC+16+1], s[sgprAlpha:sgprAlpha+1], v[vgprValuC+16:vgprValuC+16+1] // *= alpha
v_mul_f64 v[vgprValuC+18:vgprValuC+18+1], s[sgprAlpha:sgprAlpha+1], v[vgprValuC+18:vgprValuC+18+1] // *= alpha
	;; [unrolled: 1-line block ×4, first 2 shown]
s_waitcnt vmcnt(0)                                 // wait C (atomic)

/* issue first atomic writes */
v_mov_b32 v10, v12                                 // v_mov for reordering loaded data
v_mov_b32 v11, v13                                 // v_mov for reordering loaded data
v_add_f64 v[8:9], v[10:11], v[vgprValuC+16:vgprValuC+16+1] // desired value
_buffer_atomic_cmpswap_b64 v[8:11], v6, s[sgprSrdD:sgprSrdD+3] 0 offen offset:0 glc   // attempt write
v_add_f64 v[12:13], v[14:15], v[vgprValuC+18:vgprValuC+18+1] // desired value
_buffer_atomic_cmpswap_b64 v[12:15], v6, s[sgprSrdD:sgprSrdD+3] 0 offen offset:8 glc   // attempt write
v_mov_b32 v26, v28                                 // v_mov for reordering loaded data
v_mov_b32 v27, v29                                 // v_mov for reordering loaded data
v_add_f64 v[24:25], v[26:27], v[vgprValuC+20:vgprValuC+20+1] // desired value
_buffer_atomic_cmpswap_b64 v[24:27], v7, s[sgprSrdD:sgprSrdD+3] 0 offen offset:0 glc   // attempt write
v_add_f64 v[28:29], v[30:31], v[vgprValuC+22:vgprValuC+22+1] // desired value
_buffer_atomic_cmpswap_b64 v[28:31], v7, s[sgprSrdD:sgprSrdD+3] 0 offen offset:8 glc   // attempt write
s_waitcnt vmcnt(0)                                 // wait for atomic writes

/* check success of writes, update masks */
v_cmp_ne_u64 s[54:55], v[8:9], v[10:11]            // c read during atomic != c read during prior load
v_cmp_ne_u64 s[56:57], v[12:13], v[14:15]          // c read during atomic != c read during prior load
v_cmp_ne_u64 s[58:59], v[24:25], v[26:27]          // c read during atomic != c read during prior load
	;; [unrolled: 1-line block ×3, first 2 shown]

/* or masks to check for exit */
s_mov_b64 s[50:51], 0x0                            // empty mask
s_or_b64 s[50:51], s[54:55], s[50:51]              // or to add threads
s_or_b64 s[50:51], s[56:57], s[50:51]              // or to add threads
	;; [unrolled: 1-line block ×4, first 2 shown]
s_or_saveexec_b64 s[52:53], s[50:51]               // apply combined mask
s_cbranch_execz label_0054                         // if exec is zero skip loop

/* atomic CAS loop */
label_0053:

/* apply updated masks and issue writes again */
s_mov_b64 exec, s[54:55]                           // must try again
v_mov_b32 v10, v8                                  // dataV+2 = tmp (new original C)
v_mov_b32 v11, v9                                  // dataV+3 = tmp (new original C)
v_add_f64 v[8:9], v[10:11], v[vgprValuC+16:vgprValuC+16+1] // newC = rC + originalC
_buffer_atomic_cmpswap_b64 v[8:11], v6, s[sgprSrdD:sgprSrdD+3] 0 offen offset:0 glc   // attempt write
s_mov_b64 exec, s[56:57]                           // must try again
v_mov_b32 v14, v12                                 // dataV+2 = tmp (new original C)
v_mov_b32 v15, v13                                 // dataV+3 = tmp (new original C)
v_add_f64 v[12:13], v[14:15], v[vgprValuC+18:vgprValuC+18+1] // newC = rC + originalC
_buffer_atomic_cmpswap_b64 v[12:15], v6, s[sgprSrdD:sgprSrdD+3] 0 offen offset:8 glc   // attempt write
s_mov_b64 exec, s[58:59]                           // must try again
v_mov_b32 v26, v24                                 // dataV+2 = tmp (new original C)
v_mov_b32 v27, v25                                 // dataV+3 = tmp (new original C)
	;; [unrolled: 5-line block ×3, first 2 shown]
v_add_f64 v[28:29], v[30:31], v[vgprValuC+22:vgprValuC+22+1] // newC = rC + originalC
_buffer_atomic_cmpswap_b64 v[28:31], v7, s[sgprSrdD:sgprSrdD+3] 0 offen offset:8 glc   // attempt write
s_waitcnt vmcnt(0)                                 // wait for atomic writes

/* apply masks and check for success */
s_mov_b64 exec, s[54:55]                           // must try again
v_cmp_ne_u64 s[50:51], v[8:9], v[10:11]            // c read during atomic != c read during prior load
s_and_b64 s[54:55], s[50:51], s[54:55]             // inBounds & must try again
s_mov_b64 exec, s[56:57]                           // must try again
v_cmp_ne_u64 s[50:51], v[12:13], v[14:15]          // c read during atomic != c read during prior load
s_and_b64 s[56:57], s[50:51], s[56:57]             // inBounds & must try again
s_mov_b64 exec, s[58:59]                           // must try again
v_cmp_ne_u64 s[50:51], v[24:25], v[26:27]          // c read during atomic != c read during prior load
	;; [unrolled: 3-line block ×3, first 2 shown]
s_and_b64 s[60:61], s[50:51], s[60:61]             // inBounds & must try again

/* or masks to check for exit */
s_mov_b64 s[50:51], 0x0                            // empty mask
s_or_b64 s[50:51], s[54:55], s[50:51]              // or to add threads
s_or_b64 s[50:51], s[56:57], s[50:51]              // or to add threads
	;; [unrolled: 1-line block ×4, first 2 shown]
s_or_saveexec_b64 s[52:53], s[50:51]               // apply combined mask
s_cbranch_execnz label_0053                        // try again if not complete
label_0054:
s_mov_b64 exec, -1                                 // full mask -> exec
s_nop 0                                            // 1 wait state required when next inst writes vgprs held by previous dwordx4 store inst
/* optSingleColVgpr=0 optSharedColVgpr=0 optSGPRUsage=None optSrdIncForRow=0 */
s_sleep 1 // optimization: sync and wait
s_barrier

/******************************************/
/* Global Write Alpha Batch #12 (d1,d0,vc1,vc0) = */
/*    (12,0,0,0:vw2:vaw:1); (12,1,0,0:vw2:vaw:1) */
/******************************************/

/* calc coords, apply mask, and issue loads (if necessary) */
/* (d1,vc1,d0,vc0)=(12,0,0,0) */

/* Fix for UseInitialStridesCD, emitAddressSetupCode */
s_mul_i32 s50, s[sgprStrideC1J], 4                 // scale stride
_v_add_u32 v2, v2, s50                             // ROWINC- Move cinRowPtr to next row
s_mul_i32 s50, s[sgprStrideD1J], 4                 // scale stride
_v_add_u32 v3, v3, s50                             // Move coutRowPtr to next row
_v_add_lshl_u32 v6, v3, v0, 0x3                    // scaleToBpe: accumulate d0 lower and *= bpe into Cin addr
_buffer_load_b128 v[12:15], v6, s[sgprSrdD:sgprSrdD+3], 0, offen offset:0 // load D (atomic) bpm=16 vaw=1
/* (d1,vc1,d0,vc0)=(12,0,1,0) */
s_mov_b32 s50, 128                                 // coordOffset0 d0=1 vc0=0
_v_add_co_u32 v4, vcc, v0, s50                     // coord0.2: coord0 += d0*sg0*VW + vc0
_v_add_lshl_u32 v7, v3, v4, 0x3                    // scaleToBpe: accumulate d0 lower and *= bpe into Cin addr
_buffer_load_b128 v[28:31], v7, s[sgprSrdD:sgprSrdD+3], 0, offen offset:0 // load D (atomic) bpm=16 vaw=1
v_accvgpr_read_b32 v[vgprValuC+16], acc96 // copy acc to vreg[96]
v_accvgpr_read_b32 v[vgprValuC+17], acc97 // copy acc to vreg[97]
v_accvgpr_read_b32 v[vgprValuC+18], acc104 // copy acc to vreg[98]
v_accvgpr_read_b32 v[vgprValuC+19], acc105 // copy acc to vreg[99]
v_accvgpr_read_b32 v[vgprValuC+20], acc112 // copy acc to vreg[100]
v_accvgpr_read_b32 v[vgprValuC+21], acc113 // copy acc to vreg[101]
v_accvgpr_read_b32 v[vgprValuC+22], acc120 // copy acc to vreg[102]
v_accvgpr_read_b32 v[vgprValuC+23], acc121 // copy acc to vreg[103]
s_nop 1                                            // 2 wait states required before reading vgpr

/* rC *= alpha batchElements=[(12, 0, 0, 0), (12, 1, 0, 0)] */
v_mul_f64 v[vgprValuC+16:vgprValuC+16+1], s[sgprAlpha:sgprAlpha+1], v[vgprValuC+16:vgprValuC+16+1] // *= alpha
v_mul_f64 v[vgprValuC+18:vgprValuC+18+1], s[sgprAlpha:sgprAlpha+1], v[vgprValuC+18:vgprValuC+18+1] // *= alpha
v_mul_f64 v[vgprValuC+20:vgprValuC+20+1], s[sgprAlpha:sgprAlpha+1], v[vgprValuC+20:vgprValuC+20+1] // *= alpha
v_mul_f64 v[vgprValuC+22:vgprValuC+22+1], s[sgprAlpha:sgprAlpha+1], v[vgprValuC+22:vgprValuC+22+1] // *= alpha
s_waitcnt vmcnt(0)                                 // wait C (atomic)

/* issue first atomic writes */
v_mov_b32 v10, v12                                 // v_mov for reordering loaded data
v_mov_b32 v11, v13                                 // v_mov for reordering loaded data
v_add_f64 v[8:9], v[10:11], v[vgprValuC+16:vgprValuC+16+1] // desired value
_buffer_atomic_cmpswap_b64 v[8:11], v6, s[sgprSrdD:sgprSrdD+3] 0 offen offset:0 glc   // attempt write
v_add_f64 v[12:13], v[14:15], v[vgprValuC+18:vgprValuC+18+1] // desired value
_buffer_atomic_cmpswap_b64 v[12:15], v6, s[sgprSrdD:sgprSrdD+3] 0 offen offset:8 glc   // attempt write
v_mov_b32 v26, v28                                 // v_mov for reordering loaded data
v_mov_b32 v27, v29                                 // v_mov for reordering loaded data
v_add_f64 v[24:25], v[26:27], v[vgprValuC+20:vgprValuC+20+1] // desired value
_buffer_atomic_cmpswap_b64 v[24:27], v7, s[sgprSrdD:sgprSrdD+3] 0 offen offset:0 glc   // attempt write
v_add_f64 v[28:29], v[30:31], v[vgprValuC+22:vgprValuC+22+1] // desired value
_buffer_atomic_cmpswap_b64 v[28:31], v7, s[sgprSrdD:sgprSrdD+3] 0 offen offset:8 glc   // attempt write
s_waitcnt vmcnt(0)                                 // wait for atomic writes

/* check success of writes, update masks */
v_cmp_ne_u64 s[54:55], v[8:9], v[10:11]            // c read during atomic != c read during prior load
v_cmp_ne_u64 s[56:57], v[12:13], v[14:15]          // c read during atomic != c read during prior load
v_cmp_ne_u64 s[58:59], v[24:25], v[26:27]          // c read during atomic != c read during prior load
v_cmp_ne_u64 s[60:61], v[28:29], v[30:31]          // c read during atomic != c read during prior load

/* or masks to check for exit */
s_mov_b64 s[50:51], 0x0                            // empty mask
s_or_b64 s[50:51], s[54:55], s[50:51]              // or to add threads
s_or_b64 s[50:51], s[56:57], s[50:51]              // or to add threads
	;; [unrolled: 1-line block ×4, first 2 shown]
s_or_saveexec_b64 s[52:53], s[50:51]               // apply combined mask
s_cbranch_execz label_0056                         // if exec is zero skip loop

/* atomic CAS loop */
label_0055:

/* apply updated masks and issue writes again */
s_mov_b64 exec, s[54:55]                           // must try again
v_mov_b32 v10, v8                                  // dataV+2 = tmp (new original C)
v_mov_b32 v11, v9                                  // dataV+3 = tmp (new original C)
v_add_f64 v[8:9], v[10:11], v[vgprValuC+16:vgprValuC+16+1] // newC = rC + originalC
_buffer_atomic_cmpswap_b64 v[8:11], v6, s[sgprSrdD:sgprSrdD+3] 0 offen offset:0 glc   // attempt write
s_mov_b64 exec, s[56:57]                           // must try again
v_mov_b32 v14, v12                                 // dataV+2 = tmp (new original C)
v_mov_b32 v15, v13                                 // dataV+3 = tmp (new original C)
v_add_f64 v[12:13], v[14:15], v[vgprValuC+18:vgprValuC+18+1] // newC = rC + originalC
_buffer_atomic_cmpswap_b64 v[12:15], v6, s[sgprSrdD:sgprSrdD+3] 0 offen offset:8 glc   // attempt write
s_mov_b64 exec, s[58:59]                           // must try again
v_mov_b32 v26, v24                                 // dataV+2 = tmp (new original C)
v_mov_b32 v27, v25                                 // dataV+3 = tmp (new original C)
	;; [unrolled: 5-line block ×3, first 2 shown]
v_add_f64 v[28:29], v[30:31], v[vgprValuC+22:vgprValuC+22+1] // newC = rC + originalC
_buffer_atomic_cmpswap_b64 v[28:31], v7, s[sgprSrdD:sgprSrdD+3] 0 offen offset:8 glc   // attempt write
s_waitcnt vmcnt(0)                                 // wait for atomic writes

/* apply masks and check for success */
s_mov_b64 exec, s[54:55]                           // must try again
v_cmp_ne_u64 s[50:51], v[8:9], v[10:11]            // c read during atomic != c read during prior load
s_and_b64 s[54:55], s[50:51], s[54:55]             // inBounds & must try again
s_mov_b64 exec, s[56:57]                           // must try again
v_cmp_ne_u64 s[50:51], v[12:13], v[14:15]          // c read during atomic != c read during prior load
s_and_b64 s[56:57], s[50:51], s[56:57]             // inBounds & must try again
s_mov_b64 exec, s[58:59]                           // must try again
v_cmp_ne_u64 s[50:51], v[24:25], v[26:27]          // c read during atomic != c read during prior load
	;; [unrolled: 3-line block ×3, first 2 shown]
s_and_b64 s[60:61], s[50:51], s[60:61]             // inBounds & must try again

/* or masks to check for exit */
s_mov_b64 s[50:51], 0x0                            // empty mask
s_or_b64 s[50:51], s[54:55], s[50:51]              // or to add threads
s_or_b64 s[50:51], s[56:57], s[50:51]              // or to add threads
s_or_b64 s[50:51], s[58:59], s[50:51]              // or to add threads
s_or_b64 s[50:51], s[60:61], s[50:51]              // or to add threads
s_or_saveexec_b64 s[52:53], s[50:51]               // apply combined mask
s_cbranch_execnz label_0055                        // try again if not complete
label_0056:
s_mov_b64 exec, -1                                 // full mask -> exec
s_nop 0                                            // 1 wait state required when next inst writes vgprs held by previous dwordx4 store inst
/* optSingleColVgpr=0 optSharedColVgpr=0 optSGPRUsage=None optSrdIncForRow=0 */
s_sleep 1 // optimization: sync and wait
s_barrier

/******************************************/
/* Global Write Alpha Batch #13 (d1,d0,vc1,vc0) = */
/*    (13,0,0,0:vw2:vaw:1); (13,1,0,0:vw2:vaw:1) */
/******************************************/

/* calc coords, apply mask, and issue loads (if necessary) */
/* (d1,vc1,d0,vc0)=(13,0,0,0) */

/* Fix for UseInitialStridesCD, emitAddressSetupCode */
s_mul_i32 s50, s[sgprStrideC1J], 4                 // scale stride
_v_add_u32 v2, v2, s50                             // ROWINC- Move cinRowPtr to next row
s_mul_i32 s50, s[sgprStrideD1J], 4                 // scale stride
_v_add_u32 v3, v3, s50                             // Move coutRowPtr to next row
_v_add_lshl_u32 v6, v3, v0, 0x3                    // scaleToBpe: accumulate d0 lower and *= bpe into Cin addr
_buffer_load_b128 v[12:15], v6, s[sgprSrdD:sgprSrdD+3], 0, offen offset:0 // load D (atomic) bpm=16 vaw=1
/* (d1,vc1,d0,vc0)=(13,0,1,0) */
s_mov_b32 s50, 128                                 // coordOffset0 d0=1 vc0=0
_v_add_co_u32 v4, vcc, v0, s50                     // coord0.2: coord0 += d0*sg0*VW + vc0
_v_add_lshl_u32 v7, v3, v4, 0x3                    // scaleToBpe: accumulate d0 lower and *= bpe into Cin addr
_buffer_load_b128 v[28:31], v7, s[sgprSrdD:sgprSrdD+3], 0, offen offset:0 // load D (atomic) bpm=16 vaw=1
v_accvgpr_read_b32 v[vgprValuC+16], acc98 // copy acc to vreg[104]
v_accvgpr_read_b32 v[vgprValuC+17], acc99 // copy acc to vreg[105]
v_accvgpr_read_b32 v[vgprValuC+18], acc106 // copy acc to vreg[106]
v_accvgpr_read_b32 v[vgprValuC+19], acc107 // copy acc to vreg[107]
v_accvgpr_read_b32 v[vgprValuC+20], acc114 // copy acc to vreg[108]
v_accvgpr_read_b32 v[vgprValuC+21], acc115 // copy acc to vreg[109]
v_accvgpr_read_b32 v[vgprValuC+22], acc122 // copy acc to vreg[110]
v_accvgpr_read_b32 v[vgprValuC+23], acc123 // copy acc to vreg[111]
s_nop 1                                            // 2 wait states required before reading vgpr

/* rC *= alpha batchElements=[(13, 0, 0, 0), (13, 1, 0, 0)] */
v_mul_f64 v[vgprValuC+16:vgprValuC+16+1], s[sgprAlpha:sgprAlpha+1], v[vgprValuC+16:vgprValuC+16+1] // *= alpha
v_mul_f64 v[vgprValuC+18:vgprValuC+18+1], s[sgprAlpha:sgprAlpha+1], v[vgprValuC+18:vgprValuC+18+1] // *= alpha
	;; [unrolled: 1-line block ×4, first 2 shown]
s_waitcnt vmcnt(0)                                 // wait C (atomic)

/* issue first atomic writes */
v_mov_b32 v10, v12                                 // v_mov for reordering loaded data
v_mov_b32 v11, v13                                 // v_mov for reordering loaded data
v_add_f64 v[8:9], v[10:11], v[vgprValuC+16:vgprValuC+16+1] // desired value
_buffer_atomic_cmpswap_b64 v[8:11], v6, s[sgprSrdD:sgprSrdD+3] 0 offen offset:0 glc   // attempt write
v_add_f64 v[12:13], v[14:15], v[vgprValuC+18:vgprValuC+18+1] // desired value
_buffer_atomic_cmpswap_b64 v[12:15], v6, s[sgprSrdD:sgprSrdD+3] 0 offen offset:8 glc   // attempt write
v_mov_b32 v26, v28                                 // v_mov for reordering loaded data
v_mov_b32 v27, v29                                 // v_mov for reordering loaded data
v_add_f64 v[24:25], v[26:27], v[vgprValuC+20:vgprValuC+20+1] // desired value
_buffer_atomic_cmpswap_b64 v[24:27], v7, s[sgprSrdD:sgprSrdD+3] 0 offen offset:0 glc   // attempt write
v_add_f64 v[28:29], v[30:31], v[vgprValuC+22:vgprValuC+22+1] // desired value
_buffer_atomic_cmpswap_b64 v[28:31], v7, s[sgprSrdD:sgprSrdD+3] 0 offen offset:8 glc   // attempt write
s_waitcnt vmcnt(0)                                 // wait for atomic writes

/* check success of writes, update masks */
v_cmp_ne_u64 s[54:55], v[8:9], v[10:11]            // c read during atomic != c read during prior load
v_cmp_ne_u64 s[56:57], v[12:13], v[14:15]          // c read during atomic != c read during prior load
v_cmp_ne_u64 s[58:59], v[24:25], v[26:27]          // c read during atomic != c read during prior load
	;; [unrolled: 1-line block ×3, first 2 shown]

/* or masks to check for exit */
s_mov_b64 s[50:51], 0x0                            // empty mask
s_or_b64 s[50:51], s[54:55], s[50:51]              // or to add threads
s_or_b64 s[50:51], s[56:57], s[50:51]              // or to add threads
	;; [unrolled: 1-line block ×4, first 2 shown]
s_or_saveexec_b64 s[52:53], s[50:51]               // apply combined mask
s_cbranch_execz label_0058                         // if exec is zero skip loop

/* atomic CAS loop */
label_0057:

/* apply updated masks and issue writes again */
s_mov_b64 exec, s[54:55]                           // must try again
v_mov_b32 v10, v8                                  // dataV+2 = tmp (new original C)
v_mov_b32 v11, v9                                  // dataV+3 = tmp (new original C)
v_add_f64 v[8:9], v[10:11], v[vgprValuC+16:vgprValuC+16+1] // newC = rC + originalC
_buffer_atomic_cmpswap_b64 v[8:11], v6, s[sgprSrdD:sgprSrdD+3] 0 offen offset:0 glc   // attempt write
s_mov_b64 exec, s[56:57]                           // must try again
v_mov_b32 v14, v12                                 // dataV+2 = tmp (new original C)
v_mov_b32 v15, v13                                 // dataV+3 = tmp (new original C)
v_add_f64 v[12:13], v[14:15], v[vgprValuC+18:vgprValuC+18+1] // newC = rC + originalC
_buffer_atomic_cmpswap_b64 v[12:15], v6, s[sgprSrdD:sgprSrdD+3] 0 offen offset:8 glc   // attempt write
s_mov_b64 exec, s[58:59]                           // must try again
v_mov_b32 v26, v24                                 // dataV+2 = tmp (new original C)
v_mov_b32 v27, v25                                 // dataV+3 = tmp (new original C)
	;; [unrolled: 5-line block ×3, first 2 shown]
v_add_f64 v[28:29], v[30:31], v[vgprValuC+22:vgprValuC+22+1] // newC = rC + originalC
_buffer_atomic_cmpswap_b64 v[28:31], v7, s[sgprSrdD:sgprSrdD+3] 0 offen offset:8 glc   // attempt write
s_waitcnt vmcnt(0)                                 // wait for atomic writes

/* apply masks and check for success */
s_mov_b64 exec, s[54:55]                           // must try again
v_cmp_ne_u64 s[50:51], v[8:9], v[10:11]            // c read during atomic != c read during prior load
s_and_b64 s[54:55], s[50:51], s[54:55]             // inBounds & must try again
s_mov_b64 exec, s[56:57]                           // must try again
v_cmp_ne_u64 s[50:51], v[12:13], v[14:15]          // c read during atomic != c read during prior load
s_and_b64 s[56:57], s[50:51], s[56:57]             // inBounds & must try again
s_mov_b64 exec, s[58:59]                           // must try again
v_cmp_ne_u64 s[50:51], v[24:25], v[26:27]          // c read during atomic != c read during prior load
	;; [unrolled: 3-line block ×3, first 2 shown]
s_and_b64 s[60:61], s[50:51], s[60:61]             // inBounds & must try again

/* or masks to check for exit */
s_mov_b64 s[50:51], 0x0                            // empty mask
s_or_b64 s[50:51], s[54:55], s[50:51]              // or to add threads
s_or_b64 s[50:51], s[56:57], s[50:51]              // or to add threads
	;; [unrolled: 1-line block ×4, first 2 shown]
s_or_saveexec_b64 s[52:53], s[50:51]               // apply combined mask
s_cbranch_execnz label_0057                        // try again if not complete
label_0058:
s_mov_b64 exec, -1                                 // full mask -> exec
s_nop 0                                            // 1 wait state required when next inst writes vgprs held by previous dwordx4 store inst
/* optSingleColVgpr=0 optSharedColVgpr=0 optSGPRUsage=None optSrdIncForRow=0 */
s_sleep 1 // optimization: sync and wait
s_barrier

/******************************************/
/* Global Write Alpha Batch #14 (d1,d0,vc1,vc0) = */
/*    (14,0,0,0:vw2:vaw:1); (14,1,0,0:vw2:vaw:1) */
/******************************************/

/* calc coords, apply mask, and issue loads (if necessary) */
/* (d1,vc1,d0,vc0)=(14,0,0,0) */

/* Fix for UseInitialStridesCD, emitAddressSetupCode */
s_mul_i32 s50, s[sgprStrideC1J], 4                 // scale stride
_v_add_u32 v2, v2, s50                             // ROWINC- Move cinRowPtr to next row
s_mul_i32 s50, s[sgprStrideD1J], 4                 // scale stride
_v_add_u32 v3, v3, s50                             // Move coutRowPtr to next row
_v_add_lshl_u32 v6, v3, v0, 0x3                    // scaleToBpe: accumulate d0 lower and *= bpe into Cin addr
_buffer_load_b128 v[12:15], v6, s[sgprSrdD:sgprSrdD+3], 0, offen offset:0 // load D (atomic) bpm=16 vaw=1
/* (d1,vc1,d0,vc0)=(14,0,1,0) */
s_mov_b32 s50, 128                                 // coordOffset0 d0=1 vc0=0
_v_add_co_u32 v4, vcc, v0, s50                     // coord0.2: coord0 += d0*sg0*VW + vc0
_v_add_lshl_u32 v7, v3, v4, 0x3                    // scaleToBpe: accumulate d0 lower and *= bpe into Cin addr
_buffer_load_b128 v[28:31], v7, s[sgprSrdD:sgprSrdD+3], 0, offen offset:0 // load D (atomic) bpm=16 vaw=1
v_accvgpr_read_b32 v[vgprValuC+16], acc100 // copy acc to vreg[112]
v_accvgpr_read_b32 v[vgprValuC+17], acc101 // copy acc to vreg[113]
v_accvgpr_read_b32 v[vgprValuC+18], acc108 // copy acc to vreg[114]
v_accvgpr_read_b32 v[vgprValuC+19], acc109 // copy acc to vreg[115]
v_accvgpr_read_b32 v[vgprValuC+20], acc116 // copy acc to vreg[116]
v_accvgpr_read_b32 v[vgprValuC+21], acc117 // copy acc to vreg[117]
v_accvgpr_read_b32 v[vgprValuC+22], acc124 // copy acc to vreg[118]
v_accvgpr_read_b32 v[vgprValuC+23], acc125 // copy acc to vreg[119]
s_nop 1                                            // 2 wait states required before reading vgpr

/* rC *= alpha batchElements=[(14, 0, 0, 0), (14, 1, 0, 0)] */
v_mul_f64 v[vgprValuC+16:vgprValuC+16+1], s[sgprAlpha:sgprAlpha+1], v[vgprValuC+16:vgprValuC+16+1] // *= alpha
v_mul_f64 v[vgprValuC+18:vgprValuC+18+1], s[sgprAlpha:sgprAlpha+1], v[vgprValuC+18:vgprValuC+18+1] // *= alpha
	;; [unrolled: 1-line block ×4, first 2 shown]
s_waitcnt vmcnt(0)                                 // wait C (atomic)

/* issue first atomic writes */
v_mov_b32 v10, v12                                 // v_mov for reordering loaded data
v_mov_b32 v11, v13                                 // v_mov for reordering loaded data
v_add_f64 v[8:9], v[10:11], v[vgprValuC+16:vgprValuC+16+1] // desired value
_buffer_atomic_cmpswap_b64 v[8:11], v6, s[sgprSrdD:sgprSrdD+3] 0 offen offset:0 glc   // attempt write
v_add_f64 v[12:13], v[14:15], v[vgprValuC+18:vgprValuC+18+1] // desired value
_buffer_atomic_cmpswap_b64 v[12:15], v6, s[sgprSrdD:sgprSrdD+3] 0 offen offset:8 glc   // attempt write
v_mov_b32 v26, v28                                 // v_mov for reordering loaded data
v_mov_b32 v27, v29                                 // v_mov for reordering loaded data
v_add_f64 v[24:25], v[26:27], v[vgprValuC+20:vgprValuC+20+1] // desired value
_buffer_atomic_cmpswap_b64 v[24:27], v7, s[sgprSrdD:sgprSrdD+3] 0 offen offset:0 glc   // attempt write
v_add_f64 v[28:29], v[30:31], v[vgprValuC+22:vgprValuC+22+1] // desired value
_buffer_atomic_cmpswap_b64 v[28:31], v7, s[sgprSrdD:sgprSrdD+3] 0 offen offset:8 glc   // attempt write
s_waitcnt vmcnt(0)                                 // wait for atomic writes

/* check success of writes, update masks */
v_cmp_ne_u64 s[54:55], v[8:9], v[10:11]            // c read during atomic != c read during prior load
v_cmp_ne_u64 s[56:57], v[12:13], v[14:15]          // c read during atomic != c read during prior load
v_cmp_ne_u64 s[58:59], v[24:25], v[26:27]          // c read during atomic != c read during prior load
	;; [unrolled: 1-line block ×3, first 2 shown]

/* or masks to check for exit */
s_mov_b64 s[50:51], 0x0                            // empty mask
s_or_b64 s[50:51], s[54:55], s[50:51]              // or to add threads
s_or_b64 s[50:51], s[56:57], s[50:51]              // or to add threads
s_or_b64 s[50:51], s[58:59], s[50:51]              // or to add threads
s_or_b64 s[50:51], s[60:61], s[50:51]              // or to add threads
s_or_saveexec_b64 s[52:53], s[50:51]               // apply combined mask
s_cbranch_execz label_0060                         // if exec is zero skip loop

/* atomic CAS loop */
label_0059:

/* apply updated masks and issue writes again */
s_mov_b64 exec, s[54:55]                           // must try again
v_mov_b32 v10, v8                                  // dataV+2 = tmp (new original C)
v_mov_b32 v11, v9                                  // dataV+3 = tmp (new original C)
v_add_f64 v[8:9], v[10:11], v[vgprValuC+16:vgprValuC+16+1] // newC = rC + originalC
_buffer_atomic_cmpswap_b64 v[8:11], v6, s[sgprSrdD:sgprSrdD+3] 0 offen offset:0 glc   // attempt write
s_mov_b64 exec, s[56:57]                           // must try again
v_mov_b32 v14, v12                                 // dataV+2 = tmp (new original C)
v_mov_b32 v15, v13                                 // dataV+3 = tmp (new original C)
v_add_f64 v[12:13], v[14:15], v[vgprValuC+18:vgprValuC+18+1] // newC = rC + originalC
_buffer_atomic_cmpswap_b64 v[12:15], v6, s[sgprSrdD:sgprSrdD+3] 0 offen offset:8 glc   // attempt write
s_mov_b64 exec, s[58:59]                           // must try again
v_mov_b32 v26, v24                                 // dataV+2 = tmp (new original C)
v_mov_b32 v27, v25                                 // dataV+3 = tmp (new original C)
	;; [unrolled: 5-line block ×3, first 2 shown]
v_add_f64 v[28:29], v[30:31], v[vgprValuC+22:vgprValuC+22+1] // newC = rC + originalC
_buffer_atomic_cmpswap_b64 v[28:31], v7, s[sgprSrdD:sgprSrdD+3] 0 offen offset:8 glc   // attempt write
s_waitcnt vmcnt(0)                                 // wait for atomic writes

/* apply masks and check for success */
s_mov_b64 exec, s[54:55]                           // must try again
v_cmp_ne_u64 s[50:51], v[8:9], v[10:11]            // c read during atomic != c read during prior load
s_and_b64 s[54:55], s[50:51], s[54:55]             // inBounds & must try again
s_mov_b64 exec, s[56:57]                           // must try again
v_cmp_ne_u64 s[50:51], v[12:13], v[14:15]          // c read during atomic != c read during prior load
s_and_b64 s[56:57], s[50:51], s[56:57]             // inBounds & must try again
s_mov_b64 exec, s[58:59]                           // must try again
v_cmp_ne_u64 s[50:51], v[24:25], v[26:27]          // c read during atomic != c read during prior load
	;; [unrolled: 3-line block ×3, first 2 shown]
s_and_b64 s[60:61], s[50:51], s[60:61]             // inBounds & must try again

/* or masks to check for exit */
s_mov_b64 s[50:51], 0x0                            // empty mask
s_or_b64 s[50:51], s[54:55], s[50:51]              // or to add threads
s_or_b64 s[50:51], s[56:57], s[50:51]              // or to add threads
	;; [unrolled: 1-line block ×4, first 2 shown]
s_or_saveexec_b64 s[52:53], s[50:51]               // apply combined mask
s_cbranch_execnz label_0059                        // try again if not complete
label_0060:
s_mov_b64 exec, -1                                 // full mask -> exec
s_nop 0                                            // 1 wait state required when next inst writes vgprs held by previous dwordx4 store inst
/* optSingleColVgpr=0 optSharedColVgpr=0 optSGPRUsage=None optSrdIncForRow=0 */
s_sleep 1 // optimization: sync and wait
s_barrier

/******************************************/
/* Global Write Alpha Batch #15 (d1,d0,vc1,vc0) = */
/*    (15,0,0,0:vw2:vaw:1); (15,1,0,0:vw2:vaw:1) */
/******************************************/

/* calc coords, apply mask, and issue loads (if necessary) */
/* (d1,vc1,d0,vc0)=(15,0,0,0) */

/* Fix for UseInitialStridesCD, emitAddressSetupCode */
s_mul_i32 s50, s[sgprStrideC1J], 4                 // scale stride
_v_add_u32 v2, v2, s50                             // ROWINC- Move cinRowPtr to next row
s_mul_i32 s50, s[sgprStrideD1J], 4                 // scale stride
_v_add_u32 v3, v3, s50                             // Move coutRowPtr to next row
_v_add_lshl_u32 v6, v3, v0, 0x3                    // scaleToBpe: accumulate d0 lower and *= bpe into Cin addr
_buffer_load_b128 v[12:15], v6, s[sgprSrdD:sgprSrdD+3], 0, offen offset:0 // load D (atomic) bpm=16 vaw=1
/* (d1,vc1,d0,vc0)=(15,0,1,0) */
s_mov_b32 s50, 128                                 // coordOffset0 d0=1 vc0=0
_v_add_co_u32 v4, vcc, v0, s50                     // coord0.2: coord0 += d0*sg0*VW + vc0
_v_add_lshl_u32 v7, v3, v4, 0x3                    // scaleToBpe: accumulate d0 lower and *= bpe into Cin addr
_buffer_load_b128 v[28:31], v7, s[sgprSrdD:sgprSrdD+3], 0, offen offset:0 // load D (atomic) bpm=16 vaw=1
v_accvgpr_read_b32 v[vgprValuC+16], acc102 // copy acc to vreg[120]
v_accvgpr_read_b32 v[vgprValuC+17], acc103 // copy acc to vreg[121]
v_accvgpr_read_b32 v[vgprValuC+18], acc110 // copy acc to vreg[122]
v_accvgpr_read_b32 v[vgprValuC+19], acc111 // copy acc to vreg[123]
v_accvgpr_read_b32 v[vgprValuC+20], acc118 // copy acc to vreg[124]
v_accvgpr_read_b32 v[vgprValuC+21], acc119 // copy acc to vreg[125]
v_accvgpr_read_b32 v[vgprValuC+22], acc126 // copy acc to vreg[126]
v_accvgpr_read_b32 v[vgprValuC+23], acc127 // copy acc to vreg[127]
s_nop 1                                            // 2 wait states required before reading vgpr

/* rC *= alpha batchElements=[(15, 0, 0, 0), (15, 1, 0, 0)] */
v_mul_f64 v[vgprValuC+16:vgprValuC+16+1], s[sgprAlpha:sgprAlpha+1], v[vgprValuC+16:vgprValuC+16+1] // *= alpha
v_mul_f64 v[vgprValuC+18:vgprValuC+18+1], s[sgprAlpha:sgprAlpha+1], v[vgprValuC+18:vgprValuC+18+1] // *= alpha
	;; [unrolled: 1-line block ×4, first 2 shown]
s_waitcnt vmcnt(0)                                 // wait C (atomic)

/* issue first atomic writes */
v_mov_b32 v10, v12                                 // v_mov for reordering loaded data
v_mov_b32 v11, v13                                 // v_mov for reordering loaded data
v_add_f64 v[8:9], v[10:11], v[vgprValuC+16:vgprValuC+16+1] // desired value
_buffer_atomic_cmpswap_b64 v[8:11], v6, s[sgprSrdD:sgprSrdD+3] 0 offen offset:0 glc   // attempt write
v_add_f64 v[12:13], v[14:15], v[vgprValuC+18:vgprValuC+18+1] // desired value
_buffer_atomic_cmpswap_b64 v[12:15], v6, s[sgprSrdD:sgprSrdD+3] 0 offen offset:8 glc   // attempt write
v_mov_b32 v26, v28                                 // v_mov for reordering loaded data
v_mov_b32 v27, v29                                 // v_mov for reordering loaded data
v_add_f64 v[24:25], v[26:27], v[vgprValuC+20:vgprValuC+20+1] // desired value
_buffer_atomic_cmpswap_b64 v[24:27], v7, s[sgprSrdD:sgprSrdD+3] 0 offen offset:0 glc   // attempt write
v_add_f64 v[28:29], v[30:31], v[vgprValuC+22:vgprValuC+22+1] // desired value
_buffer_atomic_cmpswap_b64 v[28:31], v7, s[sgprSrdD:sgprSrdD+3] 0 offen offset:8 glc   // attempt write
s_waitcnt vmcnt(0)                                 // wait for atomic writes

/* check success of writes, update masks */
v_cmp_ne_u64 s[54:55], v[8:9], v[10:11]            // c read during atomic != c read during prior load
v_cmp_ne_u64 s[56:57], v[12:13], v[14:15]          // c read during atomic != c read during prior load
v_cmp_ne_u64 s[58:59], v[24:25], v[26:27]          // c read during atomic != c read during prior load
	;; [unrolled: 1-line block ×3, first 2 shown]

/* or masks to check for exit */
s_mov_b64 s[50:51], 0x0                            // empty mask
s_or_b64 s[50:51], s[54:55], s[50:51]              // or to add threads
s_or_b64 s[50:51], s[56:57], s[50:51]              // or to add threads
	;; [unrolled: 1-line block ×4, first 2 shown]
s_or_saveexec_b64 s[52:53], s[50:51]               // apply combined mask
s_cbranch_execz label_0062                         // if exec is zero skip loop

/* atomic CAS loop */
label_0061:

/* apply updated masks and issue writes again */
s_mov_b64 exec, s[54:55]                           // must try again
v_mov_b32 v10, v8                                  // dataV+2 = tmp (new original C)
v_mov_b32 v11, v9                                  // dataV+3 = tmp (new original C)
v_add_f64 v[8:9], v[10:11], v[vgprValuC+16:vgprValuC+16+1] // newC = rC + originalC
_buffer_atomic_cmpswap_b64 v[8:11], v6, s[sgprSrdD:sgprSrdD+3] 0 offen offset:0 glc   // attempt write
s_mov_b64 exec, s[56:57]                           // must try again
v_mov_b32 v14, v12                                 // dataV+2 = tmp (new original C)
v_mov_b32 v15, v13                                 // dataV+3 = tmp (new original C)
v_add_f64 v[12:13], v[14:15], v[vgprValuC+18:vgprValuC+18+1] // newC = rC + originalC
_buffer_atomic_cmpswap_b64 v[12:15], v6, s[sgprSrdD:sgprSrdD+3] 0 offen offset:8 glc   // attempt write
s_mov_b64 exec, s[58:59]                           // must try again
v_mov_b32 v26, v24                                 // dataV+2 = tmp (new original C)
v_mov_b32 v27, v25                                 // dataV+3 = tmp (new original C)
	;; [unrolled: 5-line block ×3, first 2 shown]
v_add_f64 v[28:29], v[30:31], v[vgprValuC+22:vgprValuC+22+1] // newC = rC + originalC
_buffer_atomic_cmpswap_b64 v[28:31], v7, s[sgprSrdD:sgprSrdD+3] 0 offen offset:8 glc   // attempt write
s_waitcnt vmcnt(0)                                 // wait for atomic writes

/* apply masks and check for success */
s_mov_b64 exec, s[54:55]                           // must try again
v_cmp_ne_u64 s[50:51], v[8:9], v[10:11]            // c read during atomic != c read during prior load
s_and_b64 s[54:55], s[50:51], s[54:55]             // inBounds & must try again
s_mov_b64 exec, s[56:57]                           // must try again
v_cmp_ne_u64 s[50:51], v[12:13], v[14:15]          // c read during atomic != c read during prior load
s_and_b64 s[56:57], s[50:51], s[56:57]             // inBounds & must try again
s_mov_b64 exec, s[58:59]                           // must try again
v_cmp_ne_u64 s[50:51], v[24:25], v[26:27]          // c read during atomic != c read during prior load
	;; [unrolled: 3-line block ×3, first 2 shown]
s_and_b64 s[60:61], s[50:51], s[60:61]             // inBounds & must try again

/* or masks to check for exit */
s_mov_b64 s[50:51], 0x0                            // empty mask
s_or_b64 s[50:51], s[54:55], s[50:51]              // or to add threads
s_or_b64 s[50:51], s[56:57], s[50:51]              // or to add threads
	;; [unrolled: 1-line block ×4, first 2 shown]
s_or_saveexec_b64 s[52:53], s[50:51]               // apply combined mask
s_cbranch_execnz label_0061                        // try again if not complete
label_0062:
s_mov_b64 exec, -1                                 // full mask -> exec
s_nop 0                                            // 1 wait state required when next inst writes vgprs held by previous dwordx4 store inst
/* optSingleColVgpr=0 optSharedColVgpr=0 optSGPRUsage=None optSrdIncForRow=0 */
s_sleep 1 // optimization: sync and wait
s_barrier

/******************************************/
/* Global Write Alpha Batch #16 (d1,d0,vc1,vc0) = */
/*    (16,0,0,0:vw2:vaw:1); (16,1,0,0:vw2:vaw:1) */
/******************************************/

/* calc coords, apply mask, and issue loads (if necessary) */
/* (d1,vc1,d0,vc0)=(16,0,0,0) */

/* Fix for UseInitialStridesCD, emitAddressSetupCode */
s_mul_i32 s50, s[sgprStrideC1J], 4                 // scale stride
_v_add_u32 v2, v2, s50                             // ROWINC- Move cinRowPtr to next row
s_mul_i32 s50, s[sgprStrideD1J], 4                 // scale stride
_v_add_u32 v3, v3, s50                             // Move coutRowPtr to next row
_v_add_lshl_u32 v6, v3, v0, 0x3                    // scaleToBpe: accumulate d0 lower and *= bpe into Cin addr
_buffer_load_b128 v[12:15], v6, s[sgprSrdD:sgprSrdD+3], 0, offen offset:0 // load D (atomic) bpm=16 vaw=1
/* (d1,vc1,d0,vc0)=(16,0,1,0) */
s_mov_b32 s50, 128                                 // coordOffset0 d0=1 vc0=0
_v_add_co_u32 v4, vcc, v0, s50                     // coord0.2: coord0 += d0*sg0*VW + vc0
_v_add_lshl_u32 v7, v3, v4, 0x3                    // scaleToBpe: accumulate d0 lower and *= bpe into Cin addr
_buffer_load_b128 v[28:31], v7, s[sgprSrdD:sgprSrdD+3], 0, offen offset:0 // load D (atomic) bpm=16 vaw=1
v_accvgpr_read_b32 v[vgprValuC+16], acc128 // copy acc to vreg[128]
v_accvgpr_read_b32 v[vgprValuC+17], acc129 // copy acc to vreg[129]
v_accvgpr_read_b32 v[vgprValuC+18], acc136 // copy acc to vreg[130]
v_accvgpr_read_b32 v[vgprValuC+19], acc137 // copy acc to vreg[131]
v_accvgpr_read_b32 v[vgprValuC+20], acc144 // copy acc to vreg[132]
v_accvgpr_read_b32 v[vgprValuC+21], acc145 // copy acc to vreg[133]
v_accvgpr_read_b32 v[vgprValuC+22], acc152 // copy acc to vreg[134]
v_accvgpr_read_b32 v[vgprValuC+23], acc153 // copy acc to vreg[135]
s_nop 1                                            // 2 wait states required before reading vgpr

/* rC *= alpha batchElements=[(16, 0, 0, 0), (16, 1, 0, 0)] */
v_mul_f64 v[vgprValuC+16:vgprValuC+16+1], s[sgprAlpha:sgprAlpha+1], v[vgprValuC+16:vgprValuC+16+1] // *= alpha
v_mul_f64 v[vgprValuC+18:vgprValuC+18+1], s[sgprAlpha:sgprAlpha+1], v[vgprValuC+18:vgprValuC+18+1] // *= alpha
	;; [unrolled: 1-line block ×4, first 2 shown]
s_waitcnt vmcnt(0)                                 // wait C (atomic)

/* issue first atomic writes */
v_mov_b32 v10, v12                                 // v_mov for reordering loaded data
v_mov_b32 v11, v13                                 // v_mov for reordering loaded data
v_add_f64 v[8:9], v[10:11], v[vgprValuC+16:vgprValuC+16+1] // desired value
_buffer_atomic_cmpswap_b64 v[8:11], v6, s[sgprSrdD:sgprSrdD+3] 0 offen offset:0 glc   // attempt write
v_add_f64 v[12:13], v[14:15], v[vgprValuC+18:vgprValuC+18+1] // desired value
_buffer_atomic_cmpswap_b64 v[12:15], v6, s[sgprSrdD:sgprSrdD+3] 0 offen offset:8 glc   // attempt write
v_mov_b32 v26, v28                                 // v_mov for reordering loaded data
v_mov_b32 v27, v29                                 // v_mov for reordering loaded data
v_add_f64 v[24:25], v[26:27], v[vgprValuC+20:vgprValuC+20+1] // desired value
_buffer_atomic_cmpswap_b64 v[24:27], v7, s[sgprSrdD:sgprSrdD+3] 0 offen offset:0 glc   // attempt write
v_add_f64 v[28:29], v[30:31], v[vgprValuC+22:vgprValuC+22+1] // desired value
_buffer_atomic_cmpswap_b64 v[28:31], v7, s[sgprSrdD:sgprSrdD+3] 0 offen offset:8 glc   // attempt write
s_waitcnt vmcnt(0)                                 // wait for atomic writes

/* check success of writes, update masks */
v_cmp_ne_u64 s[54:55], v[8:9], v[10:11]            // c read during atomic != c read during prior load
v_cmp_ne_u64 s[56:57], v[12:13], v[14:15]          // c read during atomic != c read during prior load
v_cmp_ne_u64 s[58:59], v[24:25], v[26:27]          // c read during atomic != c read during prior load
	;; [unrolled: 1-line block ×3, first 2 shown]

/* or masks to check for exit */
s_mov_b64 s[50:51], 0x0                            // empty mask
s_or_b64 s[50:51], s[54:55], s[50:51]              // or to add threads
s_or_b64 s[50:51], s[56:57], s[50:51]              // or to add threads
	;; [unrolled: 1-line block ×4, first 2 shown]
s_or_saveexec_b64 s[52:53], s[50:51]               // apply combined mask
s_cbranch_execz label_0064                         // if exec is zero skip loop

/* atomic CAS loop */
label_0063:

/* apply updated masks and issue writes again */
s_mov_b64 exec, s[54:55]                           // must try again
v_mov_b32 v10, v8                                  // dataV+2 = tmp (new original C)
v_mov_b32 v11, v9                                  // dataV+3 = tmp (new original C)
v_add_f64 v[8:9], v[10:11], v[vgprValuC+16:vgprValuC+16+1] // newC = rC + originalC
_buffer_atomic_cmpswap_b64 v[8:11], v6, s[sgprSrdD:sgprSrdD+3] 0 offen offset:0 glc   // attempt write
s_mov_b64 exec, s[56:57]                           // must try again
v_mov_b32 v14, v12                                 // dataV+2 = tmp (new original C)
v_mov_b32 v15, v13                                 // dataV+3 = tmp (new original C)
v_add_f64 v[12:13], v[14:15], v[vgprValuC+18:vgprValuC+18+1] // newC = rC + originalC
_buffer_atomic_cmpswap_b64 v[12:15], v6, s[sgprSrdD:sgprSrdD+3] 0 offen offset:8 glc   // attempt write
s_mov_b64 exec, s[58:59]                           // must try again
v_mov_b32 v26, v24                                 // dataV+2 = tmp (new original C)
v_mov_b32 v27, v25                                 // dataV+3 = tmp (new original C)
	;; [unrolled: 5-line block ×3, first 2 shown]
v_add_f64 v[28:29], v[30:31], v[vgprValuC+22:vgprValuC+22+1] // newC = rC + originalC
_buffer_atomic_cmpswap_b64 v[28:31], v7, s[sgprSrdD:sgprSrdD+3] 0 offen offset:8 glc   // attempt write
s_waitcnt vmcnt(0)                                 // wait for atomic writes

/* apply masks and check for success */
s_mov_b64 exec, s[54:55]                           // must try again
v_cmp_ne_u64 s[50:51], v[8:9], v[10:11]            // c read during atomic != c read during prior load
s_and_b64 s[54:55], s[50:51], s[54:55]             // inBounds & must try again
s_mov_b64 exec, s[56:57]                           // must try again
v_cmp_ne_u64 s[50:51], v[12:13], v[14:15]          // c read during atomic != c read during prior load
s_and_b64 s[56:57], s[50:51], s[56:57]             // inBounds & must try again
s_mov_b64 exec, s[58:59]                           // must try again
v_cmp_ne_u64 s[50:51], v[24:25], v[26:27]          // c read during atomic != c read during prior load
	;; [unrolled: 3-line block ×3, first 2 shown]
s_and_b64 s[60:61], s[50:51], s[60:61]             // inBounds & must try again

/* or masks to check for exit */
s_mov_b64 s[50:51], 0x0                            // empty mask
s_or_b64 s[50:51], s[54:55], s[50:51]              // or to add threads
s_or_b64 s[50:51], s[56:57], s[50:51]              // or to add threads
	;; [unrolled: 1-line block ×4, first 2 shown]
s_or_saveexec_b64 s[52:53], s[50:51]               // apply combined mask
s_cbranch_execnz label_0063                        // try again if not complete
label_0064:
s_mov_b64 exec, -1                                 // full mask -> exec
s_nop 0                                            // 1 wait state required when next inst writes vgprs held by previous dwordx4 store inst
/* optSingleColVgpr=0 optSharedColVgpr=0 optSGPRUsage=None optSrdIncForRow=0 */
s_sleep 1 // optimization: sync and wait
s_barrier

/******************************************/
/* Global Write Alpha Batch #17 (d1,d0,vc1,vc0) = */
/*    (17,0,0,0:vw2:vaw:1); (17,1,0,0:vw2:vaw:1) */
/******************************************/

/* calc coords, apply mask, and issue loads (if necessary) */
/* (d1,vc1,d0,vc0)=(17,0,0,0) */

/* Fix for UseInitialStridesCD, emitAddressSetupCode */
s_mul_i32 s50, s[sgprStrideC1J], 4                 // scale stride
_v_add_u32 v2, v2, s50                             // ROWINC- Move cinRowPtr to next row
s_mul_i32 s50, s[sgprStrideD1J], 4                 // scale stride
_v_add_u32 v3, v3, s50                             // Move coutRowPtr to next row
_v_add_lshl_u32 v6, v3, v0, 0x3                    // scaleToBpe: accumulate d0 lower and *= bpe into Cin addr
_buffer_load_b128 v[12:15], v6, s[sgprSrdD:sgprSrdD+3], 0, offen offset:0 // load D (atomic) bpm=16 vaw=1
/* (d1,vc1,d0,vc0)=(17,0,1,0) */
s_mov_b32 s50, 128                                 // coordOffset0 d0=1 vc0=0
_v_add_co_u32 v4, vcc, v0, s50                     // coord0.2: coord0 += d0*sg0*VW + vc0
_v_add_lshl_u32 v7, v3, v4, 0x3                    // scaleToBpe: accumulate d0 lower and *= bpe into Cin addr
_buffer_load_b128 v[28:31], v7, s[sgprSrdD:sgprSrdD+3], 0, offen offset:0 // load D (atomic) bpm=16 vaw=1
v_accvgpr_read_b32 v[vgprValuC+16], acc130 // copy acc to vreg[136]
v_accvgpr_read_b32 v[vgprValuC+17], acc131 // copy acc to vreg[137]
v_accvgpr_read_b32 v[vgprValuC+18], acc138 // copy acc to vreg[138]
v_accvgpr_read_b32 v[vgprValuC+19], acc139 // copy acc to vreg[139]
v_accvgpr_read_b32 v[vgprValuC+20], acc146 // copy acc to vreg[140]
v_accvgpr_read_b32 v[vgprValuC+21], acc147 // copy acc to vreg[141]
v_accvgpr_read_b32 v[vgprValuC+22], acc154 // copy acc to vreg[142]
v_accvgpr_read_b32 v[vgprValuC+23], acc155 // copy acc to vreg[143]
s_nop 1                                            // 2 wait states required before reading vgpr

/* rC *= alpha batchElements=[(17, 0, 0, 0), (17, 1, 0, 0)] */
v_mul_f64 v[vgprValuC+16:vgprValuC+16+1], s[sgprAlpha:sgprAlpha+1], v[vgprValuC+16:vgprValuC+16+1] // *= alpha
v_mul_f64 v[vgprValuC+18:vgprValuC+18+1], s[sgprAlpha:sgprAlpha+1], v[vgprValuC+18:vgprValuC+18+1] // *= alpha
	;; [unrolled: 1-line block ×4, first 2 shown]
s_waitcnt vmcnt(0)                                 // wait C (atomic)

/* issue first atomic writes */
v_mov_b32 v10, v12                                 // v_mov for reordering loaded data
v_mov_b32 v11, v13                                 // v_mov for reordering loaded data
v_add_f64 v[8:9], v[10:11], v[vgprValuC+16:vgprValuC+16+1] // desired value
_buffer_atomic_cmpswap_b64 v[8:11], v6, s[sgprSrdD:sgprSrdD+3] 0 offen offset:0 glc   // attempt write
v_add_f64 v[12:13], v[14:15], v[vgprValuC+18:vgprValuC+18+1] // desired value
_buffer_atomic_cmpswap_b64 v[12:15], v6, s[sgprSrdD:sgprSrdD+3] 0 offen offset:8 glc   // attempt write
v_mov_b32 v26, v28                                 // v_mov for reordering loaded data
v_mov_b32 v27, v29                                 // v_mov for reordering loaded data
v_add_f64 v[24:25], v[26:27], v[vgprValuC+20:vgprValuC+20+1] // desired value
_buffer_atomic_cmpswap_b64 v[24:27], v7, s[sgprSrdD:sgprSrdD+3] 0 offen offset:0 glc   // attempt write
v_add_f64 v[28:29], v[30:31], v[vgprValuC+22:vgprValuC+22+1] // desired value
_buffer_atomic_cmpswap_b64 v[28:31], v7, s[sgprSrdD:sgprSrdD+3] 0 offen offset:8 glc   // attempt write
s_waitcnt vmcnt(0)                                 // wait for atomic writes

/* check success of writes, update masks */
v_cmp_ne_u64 s[54:55], v[8:9], v[10:11]            // c read during atomic != c read during prior load
v_cmp_ne_u64 s[56:57], v[12:13], v[14:15]          // c read during atomic != c read during prior load
v_cmp_ne_u64 s[58:59], v[24:25], v[26:27]          // c read during atomic != c read during prior load
	;; [unrolled: 1-line block ×3, first 2 shown]

/* or masks to check for exit */
s_mov_b64 s[50:51], 0x0                            // empty mask
s_or_b64 s[50:51], s[54:55], s[50:51]              // or to add threads
s_or_b64 s[50:51], s[56:57], s[50:51]              // or to add threads
	;; [unrolled: 1-line block ×4, first 2 shown]
s_or_saveexec_b64 s[52:53], s[50:51]               // apply combined mask
s_cbranch_execz label_0066                         // if exec is zero skip loop

/* atomic CAS loop */
label_0065:

/* apply updated masks and issue writes again */
s_mov_b64 exec, s[54:55]                           // must try again
v_mov_b32 v10, v8                                  // dataV+2 = tmp (new original C)
v_mov_b32 v11, v9                                  // dataV+3 = tmp (new original C)
v_add_f64 v[8:9], v[10:11], v[vgprValuC+16:vgprValuC+16+1] // newC = rC + originalC
_buffer_atomic_cmpswap_b64 v[8:11], v6, s[sgprSrdD:sgprSrdD+3] 0 offen offset:0 glc   // attempt write
s_mov_b64 exec, s[56:57]                           // must try again
v_mov_b32 v14, v12                                 // dataV+2 = tmp (new original C)
v_mov_b32 v15, v13                                 // dataV+3 = tmp (new original C)
v_add_f64 v[12:13], v[14:15], v[vgprValuC+18:vgprValuC+18+1] // newC = rC + originalC
_buffer_atomic_cmpswap_b64 v[12:15], v6, s[sgprSrdD:sgprSrdD+3] 0 offen offset:8 glc   // attempt write
s_mov_b64 exec, s[58:59]                           // must try again
v_mov_b32 v26, v24                                 // dataV+2 = tmp (new original C)
v_mov_b32 v27, v25                                 // dataV+3 = tmp (new original C)
	;; [unrolled: 5-line block ×3, first 2 shown]
v_add_f64 v[28:29], v[30:31], v[vgprValuC+22:vgprValuC+22+1] // newC = rC + originalC
_buffer_atomic_cmpswap_b64 v[28:31], v7, s[sgprSrdD:sgprSrdD+3] 0 offen offset:8 glc   // attempt write
s_waitcnt vmcnt(0)                                 // wait for atomic writes

/* apply masks and check for success */
s_mov_b64 exec, s[54:55]                           // must try again
v_cmp_ne_u64 s[50:51], v[8:9], v[10:11]            // c read during atomic != c read during prior load
s_and_b64 s[54:55], s[50:51], s[54:55]             // inBounds & must try again
s_mov_b64 exec, s[56:57]                           // must try again
v_cmp_ne_u64 s[50:51], v[12:13], v[14:15]          // c read during atomic != c read during prior load
s_and_b64 s[56:57], s[50:51], s[56:57]             // inBounds & must try again
s_mov_b64 exec, s[58:59]                           // must try again
v_cmp_ne_u64 s[50:51], v[24:25], v[26:27]          // c read during atomic != c read during prior load
	;; [unrolled: 3-line block ×3, first 2 shown]
s_and_b64 s[60:61], s[50:51], s[60:61]             // inBounds & must try again

/* or masks to check for exit */
s_mov_b64 s[50:51], 0x0                            // empty mask
s_or_b64 s[50:51], s[54:55], s[50:51]              // or to add threads
s_or_b64 s[50:51], s[56:57], s[50:51]              // or to add threads
	;; [unrolled: 1-line block ×4, first 2 shown]
s_or_saveexec_b64 s[52:53], s[50:51]               // apply combined mask
s_cbranch_execnz label_0065                        // try again if not complete
label_0066:
s_mov_b64 exec, -1                                 // full mask -> exec
s_nop 0                                            // 1 wait state required when next inst writes vgprs held by previous dwordx4 store inst
/* optSingleColVgpr=0 optSharedColVgpr=0 optSGPRUsage=None optSrdIncForRow=0 */
s_sleep 1 // optimization: sync and wait
s_barrier

/******************************************/
/* Global Write Alpha Batch #18 (d1,d0,vc1,vc0) = */
/*    (18,0,0,0:vw2:vaw:1); (18,1,0,0:vw2:vaw:1) */
/******************************************/

/* calc coords, apply mask, and issue loads (if necessary) */
/* (d1,vc1,d0,vc0)=(18,0,0,0) */

/* Fix for UseInitialStridesCD, emitAddressSetupCode */
s_mul_i32 s50, s[sgprStrideC1J], 4                 // scale stride
_v_add_u32 v2, v2, s50                             // ROWINC- Move cinRowPtr to next row
s_mul_i32 s50, s[sgprStrideD1J], 4                 // scale stride
_v_add_u32 v3, v3, s50                             // Move coutRowPtr to next row
_v_add_lshl_u32 v6, v3, v0, 0x3                    // scaleToBpe: accumulate d0 lower and *= bpe into Cin addr
_buffer_load_b128 v[12:15], v6, s[sgprSrdD:sgprSrdD+3], 0, offen offset:0 // load D (atomic) bpm=16 vaw=1
/* (d1,vc1,d0,vc0)=(18,0,1,0) */
s_mov_b32 s50, 128                                 // coordOffset0 d0=1 vc0=0
_v_add_co_u32 v4, vcc, v0, s50                     // coord0.2: coord0 += d0*sg0*VW + vc0
_v_add_lshl_u32 v7, v3, v4, 0x3                    // scaleToBpe: accumulate d0 lower and *= bpe into Cin addr
_buffer_load_b128 v[28:31], v7, s[sgprSrdD:sgprSrdD+3], 0, offen offset:0 // load D (atomic) bpm=16 vaw=1
v_accvgpr_read_b32 v[vgprValuC+16], acc132 // copy acc to vreg[144]
v_accvgpr_read_b32 v[vgprValuC+17], acc133 // copy acc to vreg[145]
v_accvgpr_read_b32 v[vgprValuC+18], acc140 // copy acc to vreg[146]
v_accvgpr_read_b32 v[vgprValuC+19], acc141 // copy acc to vreg[147]
v_accvgpr_read_b32 v[vgprValuC+20], acc148 // copy acc to vreg[148]
v_accvgpr_read_b32 v[vgprValuC+21], acc149 // copy acc to vreg[149]
v_accvgpr_read_b32 v[vgprValuC+22], acc156 // copy acc to vreg[150]
v_accvgpr_read_b32 v[vgprValuC+23], acc157 // copy acc to vreg[151]
s_nop 1                                            // 2 wait states required before reading vgpr

/* rC *= alpha batchElements=[(18, 0, 0, 0), (18, 1, 0, 0)] */
v_mul_f64 v[vgprValuC+16:vgprValuC+16+1], s[sgprAlpha:sgprAlpha+1], v[vgprValuC+16:vgprValuC+16+1] // *= alpha
v_mul_f64 v[vgprValuC+18:vgprValuC+18+1], s[sgprAlpha:sgprAlpha+1], v[vgprValuC+18:vgprValuC+18+1] // *= alpha
	;; [unrolled: 1-line block ×4, first 2 shown]
s_waitcnt vmcnt(0)                                 // wait C (atomic)

/* issue first atomic writes */
v_mov_b32 v10, v12                                 // v_mov for reordering loaded data
v_mov_b32 v11, v13                                 // v_mov for reordering loaded data
v_add_f64 v[8:9], v[10:11], v[vgprValuC+16:vgprValuC+16+1] // desired value
_buffer_atomic_cmpswap_b64 v[8:11], v6, s[sgprSrdD:sgprSrdD+3] 0 offen offset:0 glc   // attempt write
v_add_f64 v[12:13], v[14:15], v[vgprValuC+18:vgprValuC+18+1] // desired value
_buffer_atomic_cmpswap_b64 v[12:15], v6, s[sgprSrdD:sgprSrdD+3] 0 offen offset:8 glc   // attempt write
v_mov_b32 v26, v28                                 // v_mov for reordering loaded data
v_mov_b32 v27, v29                                 // v_mov for reordering loaded data
v_add_f64 v[24:25], v[26:27], v[vgprValuC+20:vgprValuC+20+1] // desired value
_buffer_atomic_cmpswap_b64 v[24:27], v7, s[sgprSrdD:sgprSrdD+3] 0 offen offset:0 glc   // attempt write
v_add_f64 v[28:29], v[30:31], v[vgprValuC+22:vgprValuC+22+1] // desired value
_buffer_atomic_cmpswap_b64 v[28:31], v7, s[sgprSrdD:sgprSrdD+3] 0 offen offset:8 glc   // attempt write
s_waitcnt vmcnt(0)                                 // wait for atomic writes

/* check success of writes, update masks */
v_cmp_ne_u64 s[54:55], v[8:9], v[10:11]            // c read during atomic != c read during prior load
v_cmp_ne_u64 s[56:57], v[12:13], v[14:15]          // c read during atomic != c read during prior load
v_cmp_ne_u64 s[58:59], v[24:25], v[26:27]          // c read during atomic != c read during prior load
	;; [unrolled: 1-line block ×3, first 2 shown]

/* or masks to check for exit */
s_mov_b64 s[50:51], 0x0                            // empty mask
s_or_b64 s[50:51], s[54:55], s[50:51]              // or to add threads
s_or_b64 s[50:51], s[56:57], s[50:51]              // or to add threads
	;; [unrolled: 1-line block ×4, first 2 shown]
s_or_saveexec_b64 s[52:53], s[50:51]               // apply combined mask
s_cbranch_execz label_0068                         // if exec is zero skip loop

/* atomic CAS loop */
label_0067:

/* apply updated masks and issue writes again */
s_mov_b64 exec, s[54:55]                           // must try again
v_mov_b32 v10, v8                                  // dataV+2 = tmp (new original C)
v_mov_b32 v11, v9                                  // dataV+3 = tmp (new original C)
v_add_f64 v[8:9], v[10:11], v[vgprValuC+16:vgprValuC+16+1] // newC = rC + originalC
_buffer_atomic_cmpswap_b64 v[8:11], v6, s[sgprSrdD:sgprSrdD+3] 0 offen offset:0 glc   // attempt write
s_mov_b64 exec, s[56:57]                           // must try again
v_mov_b32 v14, v12                                 // dataV+2 = tmp (new original C)
v_mov_b32 v15, v13                                 // dataV+3 = tmp (new original C)
v_add_f64 v[12:13], v[14:15], v[vgprValuC+18:vgprValuC+18+1] // newC = rC + originalC
_buffer_atomic_cmpswap_b64 v[12:15], v6, s[sgprSrdD:sgprSrdD+3] 0 offen offset:8 glc   // attempt write
s_mov_b64 exec, s[58:59]                           // must try again
v_mov_b32 v26, v24                                 // dataV+2 = tmp (new original C)
v_mov_b32 v27, v25                                 // dataV+3 = tmp (new original C)
	;; [unrolled: 5-line block ×3, first 2 shown]
v_add_f64 v[28:29], v[30:31], v[vgprValuC+22:vgprValuC+22+1] // newC = rC + originalC
_buffer_atomic_cmpswap_b64 v[28:31], v7, s[sgprSrdD:sgprSrdD+3] 0 offen offset:8 glc   // attempt write
s_waitcnt vmcnt(0)                                 // wait for atomic writes

/* apply masks and check for success */
s_mov_b64 exec, s[54:55]                           // must try again
v_cmp_ne_u64 s[50:51], v[8:9], v[10:11]            // c read during atomic != c read during prior load
s_and_b64 s[54:55], s[50:51], s[54:55]             // inBounds & must try again
s_mov_b64 exec, s[56:57]                           // must try again
v_cmp_ne_u64 s[50:51], v[12:13], v[14:15]          // c read during atomic != c read during prior load
s_and_b64 s[56:57], s[50:51], s[56:57]             // inBounds & must try again
s_mov_b64 exec, s[58:59]                           // must try again
v_cmp_ne_u64 s[50:51], v[24:25], v[26:27]          // c read during atomic != c read during prior load
	;; [unrolled: 3-line block ×3, first 2 shown]
s_and_b64 s[60:61], s[50:51], s[60:61]             // inBounds & must try again

/* or masks to check for exit */
s_mov_b64 s[50:51], 0x0                            // empty mask
s_or_b64 s[50:51], s[54:55], s[50:51]              // or to add threads
s_or_b64 s[50:51], s[56:57], s[50:51]              // or to add threads
	;; [unrolled: 1-line block ×4, first 2 shown]
s_or_saveexec_b64 s[52:53], s[50:51]               // apply combined mask
s_cbranch_execnz label_0067                        // try again if not complete
label_0068:
s_mov_b64 exec, -1                                 // full mask -> exec
s_nop 0                                            // 1 wait state required when next inst writes vgprs held by previous dwordx4 store inst
/* optSingleColVgpr=0 optSharedColVgpr=0 optSGPRUsage=None optSrdIncForRow=0 */
s_sleep 1 // optimization: sync and wait
s_barrier

/******************************************/
/* Global Write Alpha Batch #19 (d1,d0,vc1,vc0) = */
/*    (19,0,0,0:vw2:vaw:1); (19,1,0,0:vw2:vaw:1) */
/******************************************/

/* calc coords, apply mask, and issue loads (if necessary) */
/* (d1,vc1,d0,vc0)=(19,0,0,0) */

/* Fix for UseInitialStridesCD, emitAddressSetupCode */
s_mul_i32 s50, s[sgprStrideC1J], 4                 // scale stride
_v_add_u32 v2, v2, s50                             // ROWINC- Move cinRowPtr to next row
s_mul_i32 s50, s[sgprStrideD1J], 4                 // scale stride
_v_add_u32 v3, v3, s50                             // Move coutRowPtr to next row
_v_add_lshl_u32 v6, v3, v0, 0x3                    // scaleToBpe: accumulate d0 lower and *= bpe into Cin addr
_buffer_load_b128 v[12:15], v6, s[sgprSrdD:sgprSrdD+3], 0, offen offset:0 // load D (atomic) bpm=16 vaw=1
/* (d1,vc1,d0,vc0)=(19,0,1,0) */
s_mov_b32 s50, 128                                 // coordOffset0 d0=1 vc0=0
_v_add_co_u32 v4, vcc, v0, s50                     // coord0.2: coord0 += d0*sg0*VW + vc0
_v_add_lshl_u32 v7, v3, v4, 0x3                    // scaleToBpe: accumulate d0 lower and *= bpe into Cin addr
_buffer_load_b128 v[28:31], v7, s[sgprSrdD:sgprSrdD+3], 0, offen offset:0 // load D (atomic) bpm=16 vaw=1
v_accvgpr_read_b32 v[vgprValuC+16], acc134 // copy acc to vreg[152]
v_accvgpr_read_b32 v[vgprValuC+17], acc135 // copy acc to vreg[153]
v_accvgpr_read_b32 v[vgprValuC+18], acc142 // copy acc to vreg[154]
v_accvgpr_read_b32 v[vgprValuC+19], acc143 // copy acc to vreg[155]
v_accvgpr_read_b32 v[vgprValuC+20], acc150 // copy acc to vreg[156]
v_accvgpr_read_b32 v[vgprValuC+21], acc151 // copy acc to vreg[157]
v_accvgpr_read_b32 v[vgprValuC+22], acc158 // copy acc to vreg[158]
v_accvgpr_read_b32 v[vgprValuC+23], acc159 // copy acc to vreg[159]
s_nop 1                                            // 2 wait states required before reading vgpr

/* rC *= alpha batchElements=[(19, 0, 0, 0), (19, 1, 0, 0)] */
v_mul_f64 v[vgprValuC+16:vgprValuC+16+1], s[sgprAlpha:sgprAlpha+1], v[vgprValuC+16:vgprValuC+16+1] // *= alpha
v_mul_f64 v[vgprValuC+18:vgprValuC+18+1], s[sgprAlpha:sgprAlpha+1], v[vgprValuC+18:vgprValuC+18+1] // *= alpha
v_mul_f64 v[vgprValuC+20:vgprValuC+20+1], s[sgprAlpha:sgprAlpha+1], v[vgprValuC+20:vgprValuC+20+1] // *= alpha
v_mul_f64 v[vgprValuC+22:vgprValuC+22+1], s[sgprAlpha:sgprAlpha+1], v[vgprValuC+22:vgprValuC+22+1] // *= alpha
s_waitcnt vmcnt(0)                                 // wait C (atomic)

/* issue first atomic writes */
v_mov_b32 v10, v12                                 // v_mov for reordering loaded data
v_mov_b32 v11, v13                                 // v_mov for reordering loaded data
v_add_f64 v[8:9], v[10:11], v[vgprValuC+16:vgprValuC+16+1] // desired value
_buffer_atomic_cmpswap_b64 v[8:11], v6, s[sgprSrdD:sgprSrdD+3] 0 offen offset:0 glc   // attempt write
v_add_f64 v[12:13], v[14:15], v[vgprValuC+18:vgprValuC+18+1] // desired value
_buffer_atomic_cmpswap_b64 v[12:15], v6, s[sgprSrdD:sgprSrdD+3] 0 offen offset:8 glc   // attempt write
v_mov_b32 v26, v28                                 // v_mov for reordering loaded data
v_mov_b32 v27, v29                                 // v_mov for reordering loaded data
v_add_f64 v[24:25], v[26:27], v[vgprValuC+20:vgprValuC+20+1] // desired value
_buffer_atomic_cmpswap_b64 v[24:27], v7, s[sgprSrdD:sgprSrdD+3] 0 offen offset:0 glc   // attempt write
v_add_f64 v[28:29], v[30:31], v[vgprValuC+22:vgprValuC+22+1] // desired value
_buffer_atomic_cmpswap_b64 v[28:31], v7, s[sgprSrdD:sgprSrdD+3] 0 offen offset:8 glc   // attempt write
s_waitcnt vmcnt(0)                                 // wait for atomic writes

/* check success of writes, update masks */
v_cmp_ne_u64 s[54:55], v[8:9], v[10:11]            // c read during atomic != c read during prior load
v_cmp_ne_u64 s[56:57], v[12:13], v[14:15]          // c read during atomic != c read during prior load
v_cmp_ne_u64 s[58:59], v[24:25], v[26:27]          // c read during atomic != c read during prior load
	;; [unrolled: 1-line block ×3, first 2 shown]

/* or masks to check for exit */
s_mov_b64 s[50:51], 0x0                            // empty mask
s_or_b64 s[50:51], s[54:55], s[50:51]              // or to add threads
s_or_b64 s[50:51], s[56:57], s[50:51]              // or to add threads
	;; [unrolled: 1-line block ×4, first 2 shown]
s_or_saveexec_b64 s[52:53], s[50:51]               // apply combined mask
s_cbranch_execz label_0070                         // if exec is zero skip loop

/* atomic CAS loop */
label_0069:

/* apply updated masks and issue writes again */
s_mov_b64 exec, s[54:55]                           // must try again
v_mov_b32 v10, v8                                  // dataV+2 = tmp (new original C)
v_mov_b32 v11, v9                                  // dataV+3 = tmp (new original C)
v_add_f64 v[8:9], v[10:11], v[vgprValuC+16:vgprValuC+16+1] // newC = rC + originalC
_buffer_atomic_cmpswap_b64 v[8:11], v6, s[sgprSrdD:sgprSrdD+3] 0 offen offset:0 glc   // attempt write
s_mov_b64 exec, s[56:57]                           // must try again
v_mov_b32 v14, v12                                 // dataV+2 = tmp (new original C)
v_mov_b32 v15, v13                                 // dataV+3 = tmp (new original C)
v_add_f64 v[12:13], v[14:15], v[vgprValuC+18:vgprValuC+18+1] // newC = rC + originalC
_buffer_atomic_cmpswap_b64 v[12:15], v6, s[sgprSrdD:sgprSrdD+3] 0 offen offset:8 glc   // attempt write
s_mov_b64 exec, s[58:59]                           // must try again
v_mov_b32 v26, v24                                 // dataV+2 = tmp (new original C)
v_mov_b32 v27, v25                                 // dataV+3 = tmp (new original C)
v_add_f64 v[24:25], v[26:27], v[vgprValuC+20:vgprValuC+20+1] // newC = rC + originalC
_buffer_atomic_cmpswap_b64 v[24:27], v7, s[sgprSrdD:sgprSrdD+3] 0 offen offset:0 glc   // attempt write
s_mov_b64 exec, s[60:61]                           // must try again
v_mov_b32 v30, v28                                 // dataV+2 = tmp (new original C)
v_mov_b32 v31, v29                                 // dataV+3 = tmp (new original C)
v_add_f64 v[28:29], v[30:31], v[vgprValuC+22:vgprValuC+22+1] // newC = rC + originalC
_buffer_atomic_cmpswap_b64 v[28:31], v7, s[sgprSrdD:sgprSrdD+3] 0 offen offset:8 glc   // attempt write
s_waitcnt vmcnt(0)                                 // wait for atomic writes

/* apply masks and check for success */
s_mov_b64 exec, s[54:55]                           // must try again
v_cmp_ne_u64 s[50:51], v[8:9], v[10:11]            // c read during atomic != c read during prior load
s_and_b64 s[54:55], s[50:51], s[54:55]             // inBounds & must try again
s_mov_b64 exec, s[56:57]                           // must try again
v_cmp_ne_u64 s[50:51], v[12:13], v[14:15]          // c read during atomic != c read during prior load
s_and_b64 s[56:57], s[50:51], s[56:57]             // inBounds & must try again
s_mov_b64 exec, s[58:59]                           // must try again
v_cmp_ne_u64 s[50:51], v[24:25], v[26:27]          // c read during atomic != c read during prior load
s_and_b64 s[58:59], s[50:51], s[58:59]             // inBounds & must try again
s_mov_b64 exec, s[60:61]                           // must try again
v_cmp_ne_u64 s[50:51], v[28:29], v[30:31]          // c read during atomic != c read during prior load
s_and_b64 s[60:61], s[50:51], s[60:61]             // inBounds & must try again

/* or masks to check for exit */
s_mov_b64 s[50:51], 0x0                            // empty mask
s_or_b64 s[50:51], s[54:55], s[50:51]              // or to add threads
s_or_b64 s[50:51], s[56:57], s[50:51]              // or to add threads
s_or_b64 s[50:51], s[58:59], s[50:51]              // or to add threads
s_or_b64 s[50:51], s[60:61], s[50:51]              // or to add threads
s_or_saveexec_b64 s[52:53], s[50:51]               // apply combined mask
s_cbranch_execnz label_0069                        // try again if not complete
label_0070:
s_mov_b64 exec, -1                                 // full mask -> exec
s_nop 0                                            // 1 wait state required when next inst writes vgprs held by previous dwordx4 store inst
/* optSingleColVgpr=0 optSharedColVgpr=0 optSGPRUsage=None optSrdIncForRow=0 */
s_sleep 1 // optimization: sync and wait
s_barrier

/******************************************/
/* Global Write Alpha Batch #20 (d1,d0,vc1,vc0) = */
/*    (20,0,0,0:vw2:vaw:1); (20,1,0,0:vw2:vaw:1) */
/******************************************/

/* calc coords, apply mask, and issue loads (if necessary) */
/* (d1,vc1,d0,vc0)=(20,0,0,0) */

/* Fix for UseInitialStridesCD, emitAddressSetupCode */
s_mul_i32 s50, s[sgprStrideC1J], 4                 // scale stride
_v_add_u32 v2, v2, s50                             // ROWINC- Move cinRowPtr to next row
s_mul_i32 s50, s[sgprStrideD1J], 4                 // scale stride
_v_add_u32 v3, v3, s50                             // Move coutRowPtr to next row
_v_add_lshl_u32 v6, v3, v0, 0x3                    // scaleToBpe: accumulate d0 lower and *= bpe into Cin addr
_buffer_load_b128 v[12:15], v6, s[sgprSrdD:sgprSrdD+3], 0, offen offset:0 // load D (atomic) bpm=16 vaw=1
/* (d1,vc1,d0,vc0)=(20,0,1,0) */
s_mov_b32 s50, 128                                 // coordOffset0 d0=1 vc0=0
_v_add_co_u32 v4, vcc, v0, s50                     // coord0.2: coord0 += d0*sg0*VW + vc0
_v_add_lshl_u32 v7, v3, v4, 0x3                    // scaleToBpe: accumulate d0 lower and *= bpe into Cin addr
_buffer_load_b128 v[28:31], v7, s[sgprSrdD:sgprSrdD+3], 0, offen offset:0 // load D (atomic) bpm=16 vaw=1
v_accvgpr_read_b32 v[vgprValuC+16], acc160 // copy acc to vreg[160]
v_accvgpr_read_b32 v[vgprValuC+17], acc161 // copy acc to vreg[161]
v_accvgpr_read_b32 v[vgprValuC+18], acc168 // copy acc to vreg[162]
v_accvgpr_read_b32 v[vgprValuC+19], acc169 // copy acc to vreg[163]
v_accvgpr_read_b32 v[vgprValuC+20], acc176 // copy acc to vreg[164]
v_accvgpr_read_b32 v[vgprValuC+21], acc177 // copy acc to vreg[165]
v_accvgpr_read_b32 v[vgprValuC+22], acc184 // copy acc to vreg[166]
v_accvgpr_read_b32 v[vgprValuC+23], acc185 // copy acc to vreg[167]
s_nop 1                                            // 2 wait states required before reading vgpr

/* rC *= alpha batchElements=[(20, 0, 0, 0), (20, 1, 0, 0)] */
v_mul_f64 v[vgprValuC+16:vgprValuC+16+1], s[sgprAlpha:sgprAlpha+1], v[vgprValuC+16:vgprValuC+16+1] // *= alpha
v_mul_f64 v[vgprValuC+18:vgprValuC+18+1], s[sgprAlpha:sgprAlpha+1], v[vgprValuC+18:vgprValuC+18+1] // *= alpha
	;; [unrolled: 1-line block ×4, first 2 shown]
s_waitcnt vmcnt(0)                                 // wait C (atomic)

/* issue first atomic writes */
v_mov_b32 v10, v12                                 // v_mov for reordering loaded data
v_mov_b32 v11, v13                                 // v_mov for reordering loaded data
v_add_f64 v[8:9], v[10:11], v[vgprValuC+16:vgprValuC+16+1] // desired value
_buffer_atomic_cmpswap_b64 v[8:11], v6, s[sgprSrdD:sgprSrdD+3] 0 offen offset:0 glc   // attempt write
v_add_f64 v[12:13], v[14:15], v[vgprValuC+18:vgprValuC+18+1] // desired value
_buffer_atomic_cmpswap_b64 v[12:15], v6, s[sgprSrdD:sgprSrdD+3] 0 offen offset:8 glc   // attempt write
v_mov_b32 v26, v28                                 // v_mov for reordering loaded data
v_mov_b32 v27, v29                                 // v_mov for reordering loaded data
v_add_f64 v[24:25], v[26:27], v[vgprValuC+20:vgprValuC+20+1] // desired value
_buffer_atomic_cmpswap_b64 v[24:27], v7, s[sgprSrdD:sgprSrdD+3] 0 offen offset:0 glc   // attempt write
v_add_f64 v[28:29], v[30:31], v[vgprValuC+22:vgprValuC+22+1] // desired value
_buffer_atomic_cmpswap_b64 v[28:31], v7, s[sgprSrdD:sgprSrdD+3] 0 offen offset:8 glc   // attempt write
s_waitcnt vmcnt(0)                                 // wait for atomic writes

/* check success of writes, update masks */
v_cmp_ne_u64 s[54:55], v[8:9], v[10:11]            // c read during atomic != c read during prior load
v_cmp_ne_u64 s[56:57], v[12:13], v[14:15]          // c read during atomic != c read during prior load
v_cmp_ne_u64 s[58:59], v[24:25], v[26:27]          // c read during atomic != c read during prior load
v_cmp_ne_u64 s[60:61], v[28:29], v[30:31]          // c read during atomic != c read during prior load

/* or masks to check for exit */
s_mov_b64 s[50:51], 0x0                            // empty mask
s_or_b64 s[50:51], s[54:55], s[50:51]              // or to add threads
s_or_b64 s[50:51], s[56:57], s[50:51]              // or to add threads
	;; [unrolled: 1-line block ×4, first 2 shown]
s_or_saveexec_b64 s[52:53], s[50:51]               // apply combined mask
s_cbranch_execz label_0072                         // if exec is zero skip loop

/* atomic CAS loop */
label_0071:

/* apply updated masks and issue writes again */
s_mov_b64 exec, s[54:55]                           // must try again
v_mov_b32 v10, v8                                  // dataV+2 = tmp (new original C)
v_mov_b32 v11, v9                                  // dataV+3 = tmp (new original C)
v_add_f64 v[8:9], v[10:11], v[vgprValuC+16:vgprValuC+16+1] // newC = rC + originalC
_buffer_atomic_cmpswap_b64 v[8:11], v6, s[sgprSrdD:sgprSrdD+3] 0 offen offset:0 glc   // attempt write
s_mov_b64 exec, s[56:57]                           // must try again
v_mov_b32 v14, v12                                 // dataV+2 = tmp (new original C)
v_mov_b32 v15, v13                                 // dataV+3 = tmp (new original C)
v_add_f64 v[12:13], v[14:15], v[vgprValuC+18:vgprValuC+18+1] // newC = rC + originalC
_buffer_atomic_cmpswap_b64 v[12:15], v6, s[sgprSrdD:sgprSrdD+3] 0 offen offset:8 glc   // attempt write
s_mov_b64 exec, s[58:59]                           // must try again
v_mov_b32 v26, v24                                 // dataV+2 = tmp (new original C)
v_mov_b32 v27, v25                                 // dataV+3 = tmp (new original C)
	;; [unrolled: 5-line block ×3, first 2 shown]
v_add_f64 v[28:29], v[30:31], v[vgprValuC+22:vgprValuC+22+1] // newC = rC + originalC
_buffer_atomic_cmpswap_b64 v[28:31], v7, s[sgprSrdD:sgprSrdD+3] 0 offen offset:8 glc   // attempt write
s_waitcnt vmcnt(0)                                 // wait for atomic writes

/* apply masks and check for success */
s_mov_b64 exec, s[54:55]                           // must try again
v_cmp_ne_u64 s[50:51], v[8:9], v[10:11]            // c read during atomic != c read during prior load
s_and_b64 s[54:55], s[50:51], s[54:55]             // inBounds & must try again
s_mov_b64 exec, s[56:57]                           // must try again
v_cmp_ne_u64 s[50:51], v[12:13], v[14:15]          // c read during atomic != c read during prior load
s_and_b64 s[56:57], s[50:51], s[56:57]             // inBounds & must try again
s_mov_b64 exec, s[58:59]                           // must try again
v_cmp_ne_u64 s[50:51], v[24:25], v[26:27]          // c read during atomic != c read during prior load
	;; [unrolled: 3-line block ×3, first 2 shown]
s_and_b64 s[60:61], s[50:51], s[60:61]             // inBounds & must try again

/* or masks to check for exit */
s_mov_b64 s[50:51], 0x0                            // empty mask
s_or_b64 s[50:51], s[54:55], s[50:51]              // or to add threads
s_or_b64 s[50:51], s[56:57], s[50:51]              // or to add threads
	;; [unrolled: 1-line block ×4, first 2 shown]
s_or_saveexec_b64 s[52:53], s[50:51]               // apply combined mask
s_cbranch_execnz label_0071                        // try again if not complete
label_0072:
s_mov_b64 exec, -1                                 // full mask -> exec
s_nop 0                                            // 1 wait state required when next inst writes vgprs held by previous dwordx4 store inst
/* optSingleColVgpr=0 optSharedColVgpr=0 optSGPRUsage=None optSrdIncForRow=0 */
s_sleep 1 // optimization: sync and wait
s_barrier

/******************************************/
/* Global Write Alpha Batch #21 (d1,d0,vc1,vc0) = */
/*    (21,0,0,0:vw2:vaw:1); (21,1,0,0:vw2:vaw:1) */
/******************************************/

/* calc coords, apply mask, and issue loads (if necessary) */
/* (d1,vc1,d0,vc0)=(21,0,0,0) */

/* Fix for UseInitialStridesCD, emitAddressSetupCode */
s_mul_i32 s50, s[sgprStrideC1J], 4                 // scale stride
_v_add_u32 v2, v2, s50                             // ROWINC- Move cinRowPtr to next row
s_mul_i32 s50, s[sgprStrideD1J], 4                 // scale stride
_v_add_u32 v3, v3, s50                             // Move coutRowPtr to next row
_v_add_lshl_u32 v6, v3, v0, 0x3                    // scaleToBpe: accumulate d0 lower and *= bpe into Cin addr
_buffer_load_b128 v[12:15], v6, s[sgprSrdD:sgprSrdD+3], 0, offen offset:0 // load D (atomic) bpm=16 vaw=1
/* (d1,vc1,d0,vc0)=(21,0,1,0) */
s_mov_b32 s50, 128                                 // coordOffset0 d0=1 vc0=0
_v_add_co_u32 v4, vcc, v0, s50                     // coord0.2: coord0 += d0*sg0*VW + vc0
_v_add_lshl_u32 v7, v3, v4, 0x3                    // scaleToBpe: accumulate d0 lower and *= bpe into Cin addr
_buffer_load_b128 v[28:31], v7, s[sgprSrdD:sgprSrdD+3], 0, offen offset:0 // load D (atomic) bpm=16 vaw=1
v_accvgpr_read_b32 v[vgprValuC+16], acc162 // copy acc to vreg[168]
v_accvgpr_read_b32 v[vgprValuC+17], acc163 // copy acc to vreg[169]
v_accvgpr_read_b32 v[vgprValuC+18], acc170 // copy acc to vreg[170]
v_accvgpr_read_b32 v[vgprValuC+19], acc171 // copy acc to vreg[171]
v_accvgpr_read_b32 v[vgprValuC+20], acc178 // copy acc to vreg[172]
v_accvgpr_read_b32 v[vgprValuC+21], acc179 // copy acc to vreg[173]
v_accvgpr_read_b32 v[vgprValuC+22], acc186 // copy acc to vreg[174]
v_accvgpr_read_b32 v[vgprValuC+23], acc187 // copy acc to vreg[175]
s_nop 1                                            // 2 wait states required before reading vgpr

/* rC *= alpha batchElements=[(21, 0, 0, 0), (21, 1, 0, 0)] */
v_mul_f64 v[vgprValuC+16:vgprValuC+16+1], s[sgprAlpha:sgprAlpha+1], v[vgprValuC+16:vgprValuC+16+1] // *= alpha
v_mul_f64 v[vgprValuC+18:vgprValuC+18+1], s[sgprAlpha:sgprAlpha+1], v[vgprValuC+18:vgprValuC+18+1] // *= alpha
	;; [unrolled: 1-line block ×4, first 2 shown]
s_waitcnt vmcnt(0)                                 // wait C (atomic)

/* issue first atomic writes */
v_mov_b32 v10, v12                                 // v_mov for reordering loaded data
v_mov_b32 v11, v13                                 // v_mov for reordering loaded data
v_add_f64 v[8:9], v[10:11], v[vgprValuC+16:vgprValuC+16+1] // desired value
_buffer_atomic_cmpswap_b64 v[8:11], v6, s[sgprSrdD:sgprSrdD+3] 0 offen offset:0 glc   // attempt write
v_add_f64 v[12:13], v[14:15], v[vgprValuC+18:vgprValuC+18+1] // desired value
_buffer_atomic_cmpswap_b64 v[12:15], v6, s[sgprSrdD:sgprSrdD+3] 0 offen offset:8 glc   // attempt write
v_mov_b32 v26, v28                                 // v_mov for reordering loaded data
v_mov_b32 v27, v29                                 // v_mov for reordering loaded data
v_add_f64 v[24:25], v[26:27], v[vgprValuC+20:vgprValuC+20+1] // desired value
_buffer_atomic_cmpswap_b64 v[24:27], v7, s[sgprSrdD:sgprSrdD+3] 0 offen offset:0 glc   // attempt write
v_add_f64 v[28:29], v[30:31], v[vgprValuC+22:vgprValuC+22+1] // desired value
_buffer_atomic_cmpswap_b64 v[28:31], v7, s[sgprSrdD:sgprSrdD+3] 0 offen offset:8 glc   // attempt write
s_waitcnt vmcnt(0)                                 // wait for atomic writes

/* check success of writes, update masks */
v_cmp_ne_u64 s[54:55], v[8:9], v[10:11]            // c read during atomic != c read during prior load
v_cmp_ne_u64 s[56:57], v[12:13], v[14:15]          // c read during atomic != c read during prior load
v_cmp_ne_u64 s[58:59], v[24:25], v[26:27]          // c read during atomic != c read during prior load
	;; [unrolled: 1-line block ×3, first 2 shown]

/* or masks to check for exit */
s_mov_b64 s[50:51], 0x0                            // empty mask
s_or_b64 s[50:51], s[54:55], s[50:51]              // or to add threads
s_or_b64 s[50:51], s[56:57], s[50:51]              // or to add threads
	;; [unrolled: 1-line block ×4, first 2 shown]
s_or_saveexec_b64 s[52:53], s[50:51]               // apply combined mask
s_cbranch_execz label_0074                         // if exec is zero skip loop

/* atomic CAS loop */
label_0073:

/* apply updated masks and issue writes again */
s_mov_b64 exec, s[54:55]                           // must try again
v_mov_b32 v10, v8                                  // dataV+2 = tmp (new original C)
v_mov_b32 v11, v9                                  // dataV+3 = tmp (new original C)
v_add_f64 v[8:9], v[10:11], v[vgprValuC+16:vgprValuC+16+1] // newC = rC + originalC
_buffer_atomic_cmpswap_b64 v[8:11], v6, s[sgprSrdD:sgprSrdD+3] 0 offen offset:0 glc   // attempt write
s_mov_b64 exec, s[56:57]                           // must try again
v_mov_b32 v14, v12                                 // dataV+2 = tmp (new original C)
v_mov_b32 v15, v13                                 // dataV+3 = tmp (new original C)
v_add_f64 v[12:13], v[14:15], v[vgprValuC+18:vgprValuC+18+1] // newC = rC + originalC
_buffer_atomic_cmpswap_b64 v[12:15], v6, s[sgprSrdD:sgprSrdD+3] 0 offen offset:8 glc   // attempt write
s_mov_b64 exec, s[58:59]                           // must try again
v_mov_b32 v26, v24                                 // dataV+2 = tmp (new original C)
v_mov_b32 v27, v25                                 // dataV+3 = tmp (new original C)
	;; [unrolled: 5-line block ×3, first 2 shown]
v_add_f64 v[28:29], v[30:31], v[vgprValuC+22:vgprValuC+22+1] // newC = rC + originalC
_buffer_atomic_cmpswap_b64 v[28:31], v7, s[sgprSrdD:sgprSrdD+3] 0 offen offset:8 glc   // attempt write
s_waitcnt vmcnt(0)                                 // wait for atomic writes

/* apply masks and check for success */
s_mov_b64 exec, s[54:55]                           // must try again
v_cmp_ne_u64 s[50:51], v[8:9], v[10:11]            // c read during atomic != c read during prior load
s_and_b64 s[54:55], s[50:51], s[54:55]             // inBounds & must try again
s_mov_b64 exec, s[56:57]                           // must try again
v_cmp_ne_u64 s[50:51], v[12:13], v[14:15]          // c read during atomic != c read during prior load
s_and_b64 s[56:57], s[50:51], s[56:57]             // inBounds & must try again
s_mov_b64 exec, s[58:59]                           // must try again
v_cmp_ne_u64 s[50:51], v[24:25], v[26:27]          // c read during atomic != c read during prior load
	;; [unrolled: 3-line block ×3, first 2 shown]
s_and_b64 s[60:61], s[50:51], s[60:61]             // inBounds & must try again

/* or masks to check for exit */
s_mov_b64 s[50:51], 0x0                            // empty mask
s_or_b64 s[50:51], s[54:55], s[50:51]              // or to add threads
s_or_b64 s[50:51], s[56:57], s[50:51]              // or to add threads
	;; [unrolled: 1-line block ×4, first 2 shown]
s_or_saveexec_b64 s[52:53], s[50:51]               // apply combined mask
s_cbranch_execnz label_0073                        // try again if not complete
label_0074:
s_mov_b64 exec, -1                                 // full mask -> exec
s_nop 0                                            // 1 wait state required when next inst writes vgprs held by previous dwordx4 store inst
/* optSingleColVgpr=0 optSharedColVgpr=0 optSGPRUsage=None optSrdIncForRow=0 */
s_sleep 1 // optimization: sync and wait
s_barrier

/******************************************/
/* Global Write Alpha Batch #22 (d1,d0,vc1,vc0) = */
/*    (22,0,0,0:vw2:vaw:1); (22,1,0,0:vw2:vaw:1) */
/******************************************/

/* calc coords, apply mask, and issue loads (if necessary) */
/* (d1,vc1,d0,vc0)=(22,0,0,0) */

/* Fix for UseInitialStridesCD, emitAddressSetupCode */
s_mul_i32 s50, s[sgprStrideC1J], 4                 // scale stride
_v_add_u32 v2, v2, s50                             // ROWINC- Move cinRowPtr to next row
s_mul_i32 s50, s[sgprStrideD1J], 4                 // scale stride
_v_add_u32 v3, v3, s50                             // Move coutRowPtr to next row
_v_add_lshl_u32 v6, v3, v0, 0x3                    // scaleToBpe: accumulate d0 lower and *= bpe into Cin addr
_buffer_load_b128 v[12:15], v6, s[sgprSrdD:sgprSrdD+3], 0, offen offset:0 // load D (atomic) bpm=16 vaw=1
/* (d1,vc1,d0,vc0)=(22,0,1,0) */
s_mov_b32 s50, 128                                 // coordOffset0 d0=1 vc0=0
_v_add_co_u32 v4, vcc, v0, s50                     // coord0.2: coord0 += d0*sg0*VW + vc0
_v_add_lshl_u32 v7, v3, v4, 0x3                    // scaleToBpe: accumulate d0 lower and *= bpe into Cin addr
_buffer_load_b128 v[28:31], v7, s[sgprSrdD:sgprSrdD+3], 0, offen offset:0 // load D (atomic) bpm=16 vaw=1
v_accvgpr_read_b32 v[vgprValuC+16], acc164 // copy acc to vreg[176]
v_accvgpr_read_b32 v[vgprValuC+17], acc165 // copy acc to vreg[177]
v_accvgpr_read_b32 v[vgprValuC+18], acc172 // copy acc to vreg[178]
v_accvgpr_read_b32 v[vgprValuC+19], acc173 // copy acc to vreg[179]
v_accvgpr_read_b32 v[vgprValuC+20], acc180 // copy acc to vreg[180]
v_accvgpr_read_b32 v[vgprValuC+21], acc181 // copy acc to vreg[181]
v_accvgpr_read_b32 v[vgprValuC+22], acc188 // copy acc to vreg[182]
v_accvgpr_read_b32 v[vgprValuC+23], acc189 // copy acc to vreg[183]
s_nop 1                                            // 2 wait states required before reading vgpr

/* rC *= alpha batchElements=[(22, 0, 0, 0), (22, 1, 0, 0)] */
v_mul_f64 v[vgprValuC+16:vgprValuC+16+1], s[sgprAlpha:sgprAlpha+1], v[vgprValuC+16:vgprValuC+16+1] // *= alpha
v_mul_f64 v[vgprValuC+18:vgprValuC+18+1], s[sgprAlpha:sgprAlpha+1], v[vgprValuC+18:vgprValuC+18+1] // *= alpha
	;; [unrolled: 1-line block ×4, first 2 shown]
s_waitcnt vmcnt(0)                                 // wait C (atomic)

/* issue first atomic writes */
v_mov_b32 v10, v12                                 // v_mov for reordering loaded data
v_mov_b32 v11, v13                                 // v_mov for reordering loaded data
v_add_f64 v[8:9], v[10:11], v[vgprValuC+16:vgprValuC+16+1] // desired value
_buffer_atomic_cmpswap_b64 v[8:11], v6, s[sgprSrdD:sgprSrdD+3] 0 offen offset:0 glc   // attempt write
v_add_f64 v[12:13], v[14:15], v[vgprValuC+18:vgprValuC+18+1] // desired value
_buffer_atomic_cmpswap_b64 v[12:15], v6, s[sgprSrdD:sgprSrdD+3] 0 offen offset:8 glc   // attempt write
v_mov_b32 v26, v28                                 // v_mov for reordering loaded data
v_mov_b32 v27, v29                                 // v_mov for reordering loaded data
v_add_f64 v[24:25], v[26:27], v[vgprValuC+20:vgprValuC+20+1] // desired value
_buffer_atomic_cmpswap_b64 v[24:27], v7, s[sgprSrdD:sgprSrdD+3] 0 offen offset:0 glc   // attempt write
v_add_f64 v[28:29], v[30:31], v[vgprValuC+22:vgprValuC+22+1] // desired value
_buffer_atomic_cmpswap_b64 v[28:31], v7, s[sgprSrdD:sgprSrdD+3] 0 offen offset:8 glc   // attempt write
s_waitcnt vmcnt(0)                                 // wait for atomic writes

/* check success of writes, update masks */
v_cmp_ne_u64 s[54:55], v[8:9], v[10:11]            // c read during atomic != c read during prior load
v_cmp_ne_u64 s[56:57], v[12:13], v[14:15]          // c read during atomic != c read during prior load
v_cmp_ne_u64 s[58:59], v[24:25], v[26:27]          // c read during atomic != c read during prior load
v_cmp_ne_u64 s[60:61], v[28:29], v[30:31]          // c read during atomic != c read during prior load

/* or masks to check for exit */
s_mov_b64 s[50:51], 0x0                            // empty mask
s_or_b64 s[50:51], s[54:55], s[50:51]              // or to add threads
s_or_b64 s[50:51], s[56:57], s[50:51]              // or to add threads
	;; [unrolled: 1-line block ×4, first 2 shown]
s_or_saveexec_b64 s[52:53], s[50:51]               // apply combined mask
s_cbranch_execz label_0076                         // if exec is zero skip loop

/* atomic CAS loop */
label_0075:

/* apply updated masks and issue writes again */
s_mov_b64 exec, s[54:55]                           // must try again
v_mov_b32 v10, v8                                  // dataV+2 = tmp (new original C)
v_mov_b32 v11, v9                                  // dataV+3 = tmp (new original C)
v_add_f64 v[8:9], v[10:11], v[vgprValuC+16:vgprValuC+16+1] // newC = rC + originalC
_buffer_atomic_cmpswap_b64 v[8:11], v6, s[sgprSrdD:sgprSrdD+3] 0 offen offset:0 glc   // attempt write
s_mov_b64 exec, s[56:57]                           // must try again
v_mov_b32 v14, v12                                 // dataV+2 = tmp (new original C)
v_mov_b32 v15, v13                                 // dataV+3 = tmp (new original C)
v_add_f64 v[12:13], v[14:15], v[vgprValuC+18:vgprValuC+18+1] // newC = rC + originalC
_buffer_atomic_cmpswap_b64 v[12:15], v6, s[sgprSrdD:sgprSrdD+3] 0 offen offset:8 glc   // attempt write
s_mov_b64 exec, s[58:59]                           // must try again
v_mov_b32 v26, v24                                 // dataV+2 = tmp (new original C)
v_mov_b32 v27, v25                                 // dataV+3 = tmp (new original C)
	;; [unrolled: 5-line block ×3, first 2 shown]
v_add_f64 v[28:29], v[30:31], v[vgprValuC+22:vgprValuC+22+1] // newC = rC + originalC
_buffer_atomic_cmpswap_b64 v[28:31], v7, s[sgprSrdD:sgprSrdD+3] 0 offen offset:8 glc   // attempt write
s_waitcnt vmcnt(0)                                 // wait for atomic writes

/* apply masks and check for success */
s_mov_b64 exec, s[54:55]                           // must try again
v_cmp_ne_u64 s[50:51], v[8:9], v[10:11]            // c read during atomic != c read during prior load
s_and_b64 s[54:55], s[50:51], s[54:55]             // inBounds & must try again
s_mov_b64 exec, s[56:57]                           // must try again
v_cmp_ne_u64 s[50:51], v[12:13], v[14:15]          // c read during atomic != c read during prior load
s_and_b64 s[56:57], s[50:51], s[56:57]             // inBounds & must try again
s_mov_b64 exec, s[58:59]                           // must try again
v_cmp_ne_u64 s[50:51], v[24:25], v[26:27]          // c read during atomic != c read during prior load
	;; [unrolled: 3-line block ×3, first 2 shown]
s_and_b64 s[60:61], s[50:51], s[60:61]             // inBounds & must try again

/* or masks to check for exit */
s_mov_b64 s[50:51], 0x0                            // empty mask
s_or_b64 s[50:51], s[54:55], s[50:51]              // or to add threads
s_or_b64 s[50:51], s[56:57], s[50:51]              // or to add threads
	;; [unrolled: 1-line block ×4, first 2 shown]
s_or_saveexec_b64 s[52:53], s[50:51]               // apply combined mask
s_cbranch_execnz label_0075                        // try again if not complete
label_0076:
s_mov_b64 exec, -1                                 // full mask -> exec
s_nop 0                                            // 1 wait state required when next inst writes vgprs held by previous dwordx4 store inst
/* optSingleColVgpr=0 optSharedColVgpr=0 optSGPRUsage=None optSrdIncForRow=0 */
s_sleep 1 // optimization: sync and wait
s_barrier

/******************************************/
/* Global Write Alpha Batch #23 (d1,d0,vc1,vc0) = */
/*    (23,0,0,0:vw2:vaw:1); (23,1,0,0:vw2:vaw:1) */
/******************************************/

/* calc coords, apply mask, and issue loads (if necessary) */
/* (d1,vc1,d0,vc0)=(23,0,0,0) */

/* Fix for UseInitialStridesCD, emitAddressSetupCode */
s_mul_i32 s50, s[sgprStrideC1J], 4                 // scale stride
_v_add_u32 v2, v2, s50                             // ROWINC- Move cinRowPtr to next row
s_mul_i32 s50, s[sgprStrideD1J], 4                 // scale stride
_v_add_u32 v3, v3, s50                             // Move coutRowPtr to next row
_v_add_lshl_u32 v6, v3, v0, 0x3                    // scaleToBpe: accumulate d0 lower and *= bpe into Cin addr
_buffer_load_b128 v[12:15], v6, s[sgprSrdD:sgprSrdD+3], 0, offen offset:0 // load D (atomic) bpm=16 vaw=1
/* (d1,vc1,d0,vc0)=(23,0,1,0) */
s_mov_b32 s50, 128                                 // coordOffset0 d0=1 vc0=0
_v_add_co_u32 v4, vcc, v0, s50                     // coord0.2: coord0 += d0*sg0*VW + vc0
_v_add_lshl_u32 v7, v3, v4, 0x3                    // scaleToBpe: accumulate d0 lower and *= bpe into Cin addr
_buffer_load_b128 v[28:31], v7, s[sgprSrdD:sgprSrdD+3], 0, offen offset:0 // load D (atomic) bpm=16 vaw=1
v_accvgpr_read_b32 v[vgprValuC+16], acc166 // copy acc to vreg[184]
v_accvgpr_read_b32 v[vgprValuC+17], acc167 // copy acc to vreg[185]
v_accvgpr_read_b32 v[vgprValuC+18], acc174 // copy acc to vreg[186]
v_accvgpr_read_b32 v[vgprValuC+19], acc175 // copy acc to vreg[187]
v_accvgpr_read_b32 v[vgprValuC+20], acc182 // copy acc to vreg[188]
v_accvgpr_read_b32 v[vgprValuC+21], acc183 // copy acc to vreg[189]
v_accvgpr_read_b32 v[vgprValuC+22], acc190 // copy acc to vreg[190]
v_accvgpr_read_b32 v[vgprValuC+23], acc191 // copy acc to vreg[191]
s_nop 1                                            // 2 wait states required before reading vgpr

/* rC *= alpha batchElements=[(23, 0, 0, 0), (23, 1, 0, 0)] */
v_mul_f64 v[vgprValuC+16:vgprValuC+16+1], s[sgprAlpha:sgprAlpha+1], v[vgprValuC+16:vgprValuC+16+1] // *= alpha
v_mul_f64 v[vgprValuC+18:vgprValuC+18+1], s[sgprAlpha:sgprAlpha+1], v[vgprValuC+18:vgprValuC+18+1] // *= alpha
v_mul_f64 v[vgprValuC+20:vgprValuC+20+1], s[sgprAlpha:sgprAlpha+1], v[vgprValuC+20:vgprValuC+20+1] // *= alpha
v_mul_f64 v[vgprValuC+22:vgprValuC+22+1], s[sgprAlpha:sgprAlpha+1], v[vgprValuC+22:vgprValuC+22+1] // *= alpha
s_waitcnt vmcnt(0)                                 // wait C (atomic)

/* issue first atomic writes */
v_mov_b32 v10, v12                                 // v_mov for reordering loaded data
v_mov_b32 v11, v13                                 // v_mov for reordering loaded data
v_add_f64 v[8:9], v[10:11], v[vgprValuC+16:vgprValuC+16+1] // desired value
_buffer_atomic_cmpswap_b64 v[8:11], v6, s[sgprSrdD:sgprSrdD+3] 0 offen offset:0 glc   // attempt write
v_add_f64 v[12:13], v[14:15], v[vgprValuC+18:vgprValuC+18+1] // desired value
_buffer_atomic_cmpswap_b64 v[12:15], v6, s[sgprSrdD:sgprSrdD+3] 0 offen offset:8 glc   // attempt write
v_mov_b32 v26, v28                                 // v_mov for reordering loaded data
v_mov_b32 v27, v29                                 // v_mov for reordering loaded data
v_add_f64 v[24:25], v[26:27], v[vgprValuC+20:vgprValuC+20+1] // desired value
_buffer_atomic_cmpswap_b64 v[24:27], v7, s[sgprSrdD:sgprSrdD+3] 0 offen offset:0 glc   // attempt write
v_add_f64 v[28:29], v[30:31], v[vgprValuC+22:vgprValuC+22+1] // desired value
_buffer_atomic_cmpswap_b64 v[28:31], v7, s[sgprSrdD:sgprSrdD+3] 0 offen offset:8 glc   // attempt write
s_waitcnt vmcnt(0)                                 // wait for atomic writes

/* check success of writes, update masks */
v_cmp_ne_u64 s[54:55], v[8:9], v[10:11]            // c read during atomic != c read during prior load
v_cmp_ne_u64 s[56:57], v[12:13], v[14:15]          // c read during atomic != c read during prior load
v_cmp_ne_u64 s[58:59], v[24:25], v[26:27]          // c read during atomic != c read during prior load
	;; [unrolled: 1-line block ×3, first 2 shown]

/* or masks to check for exit */
s_mov_b64 s[50:51], 0x0                            // empty mask
s_or_b64 s[50:51], s[54:55], s[50:51]              // or to add threads
s_or_b64 s[50:51], s[56:57], s[50:51]              // or to add threads
s_or_b64 s[50:51], s[58:59], s[50:51]              // or to add threads
s_or_b64 s[50:51], s[60:61], s[50:51]              // or to add threads
s_or_saveexec_b64 s[52:53], s[50:51]               // apply combined mask
s_cbranch_execz label_0078                         // if exec is zero skip loop

/* atomic CAS loop */
label_0077:

/* apply updated masks and issue writes again */
s_mov_b64 exec, s[54:55]                           // must try again
v_mov_b32 v10, v8                                  // dataV+2 = tmp (new original C)
v_mov_b32 v11, v9                                  // dataV+3 = tmp (new original C)
v_add_f64 v[8:9], v[10:11], v[vgprValuC+16:vgprValuC+16+1] // newC = rC + originalC
_buffer_atomic_cmpswap_b64 v[8:11], v6, s[sgprSrdD:sgprSrdD+3] 0 offen offset:0 glc   // attempt write
s_mov_b64 exec, s[56:57]                           // must try again
v_mov_b32 v14, v12                                 // dataV+2 = tmp (new original C)
v_mov_b32 v15, v13                                 // dataV+3 = tmp (new original C)
v_add_f64 v[12:13], v[14:15], v[vgprValuC+18:vgprValuC+18+1] // newC = rC + originalC
_buffer_atomic_cmpswap_b64 v[12:15], v6, s[sgprSrdD:sgprSrdD+3] 0 offen offset:8 glc   // attempt write
s_mov_b64 exec, s[58:59]                           // must try again
v_mov_b32 v26, v24                                 // dataV+2 = tmp (new original C)
v_mov_b32 v27, v25                                 // dataV+3 = tmp (new original C)
	;; [unrolled: 5-line block ×3, first 2 shown]
v_add_f64 v[28:29], v[30:31], v[vgprValuC+22:vgprValuC+22+1] // newC = rC + originalC
_buffer_atomic_cmpswap_b64 v[28:31], v7, s[sgprSrdD:sgprSrdD+3] 0 offen offset:8 glc   // attempt write
s_waitcnt vmcnt(0)                                 // wait for atomic writes

/* apply masks and check for success */
s_mov_b64 exec, s[54:55]                           // must try again
v_cmp_ne_u64 s[50:51], v[8:9], v[10:11]            // c read during atomic != c read during prior load
s_and_b64 s[54:55], s[50:51], s[54:55]             // inBounds & must try again
s_mov_b64 exec, s[56:57]                           // must try again
v_cmp_ne_u64 s[50:51], v[12:13], v[14:15]          // c read during atomic != c read during prior load
s_and_b64 s[56:57], s[50:51], s[56:57]             // inBounds & must try again
s_mov_b64 exec, s[58:59]                           // must try again
v_cmp_ne_u64 s[50:51], v[24:25], v[26:27]          // c read during atomic != c read during prior load
	;; [unrolled: 3-line block ×3, first 2 shown]
s_and_b64 s[60:61], s[50:51], s[60:61]             // inBounds & must try again

/* or masks to check for exit */
s_mov_b64 s[50:51], 0x0                            // empty mask
s_or_b64 s[50:51], s[54:55], s[50:51]              // or to add threads
s_or_b64 s[50:51], s[56:57], s[50:51]              // or to add threads
	;; [unrolled: 1-line block ×4, first 2 shown]
s_or_saveexec_b64 s[52:53], s[50:51]               // apply combined mask
s_cbranch_execnz label_0077                        // try again if not complete
label_0078:
s_mov_b64 exec, -1                                 // full mask -> exec
s_nop 0                                            // 1 wait state required when next inst writes vgprs held by previous dwordx4 store inst
/* optSingleColVgpr=0 optSharedColVgpr=0 optSGPRUsage=None optSrdIncForRow=0 */
s_sleep 1 // optimization: sync and wait
s_barrier

/******************************************/
/* Global Write Alpha Batch #24 (d1,d0,vc1,vc0) = */
/*    (24,0,0,0:vw2:vaw:1); (24,1,0,0:vw2:vaw:1) */
/******************************************/

/* calc coords, apply mask, and issue loads (if necessary) */
/* (d1,vc1,d0,vc0)=(24,0,0,0) */

/* Fix for UseInitialStridesCD, emitAddressSetupCode */
s_mul_i32 s50, s[sgprStrideC1J], 4                 // scale stride
_v_add_u32 v2, v2, s50                             // ROWINC- Move cinRowPtr to next row
s_mul_i32 s50, s[sgprStrideD1J], 4                 // scale stride
_v_add_u32 v3, v3, s50                             // Move coutRowPtr to next row
_v_add_lshl_u32 v6, v3, v0, 0x3                    // scaleToBpe: accumulate d0 lower and *= bpe into Cin addr
_buffer_load_b128 v[12:15], v6, s[sgprSrdD:sgprSrdD+3], 0, offen offset:0 // load D (atomic) bpm=16 vaw=1
/* (d1,vc1,d0,vc0)=(24,0,1,0) */
s_mov_b32 s50, 128                                 // coordOffset0 d0=1 vc0=0
_v_add_co_u32 v4, vcc, v0, s50                     // coord0.2: coord0 += d0*sg0*VW + vc0
_v_add_lshl_u32 v7, v3, v4, 0x3                    // scaleToBpe: accumulate d0 lower and *= bpe into Cin addr
_buffer_load_b128 v[28:31], v7, s[sgprSrdD:sgprSrdD+3], 0, offen offset:0 // load D (atomic) bpm=16 vaw=1
v_accvgpr_read_b32 v[vgprValuC+16], acc192 // copy acc to vreg[192]
v_accvgpr_read_b32 v[vgprValuC+17], acc193 // copy acc to vreg[193]
v_accvgpr_read_b32 v[vgprValuC+18], acc200 // copy acc to vreg[194]
v_accvgpr_read_b32 v[vgprValuC+19], acc201 // copy acc to vreg[195]
v_accvgpr_read_b32 v[vgprValuC+20], acc208 // copy acc to vreg[196]
v_accvgpr_read_b32 v[vgprValuC+21], acc209 // copy acc to vreg[197]
v_accvgpr_read_b32 v[vgprValuC+22], acc216 // copy acc to vreg[198]
v_accvgpr_read_b32 v[vgprValuC+23], acc217 // copy acc to vreg[199]
s_nop 1                                            // 2 wait states required before reading vgpr

/* rC *= alpha batchElements=[(24, 0, 0, 0), (24, 1, 0, 0)] */
v_mul_f64 v[vgprValuC+16:vgprValuC+16+1], s[sgprAlpha:sgprAlpha+1], v[vgprValuC+16:vgprValuC+16+1] // *= alpha
v_mul_f64 v[vgprValuC+18:vgprValuC+18+1], s[sgprAlpha:sgprAlpha+1], v[vgprValuC+18:vgprValuC+18+1] // *= alpha
	;; [unrolled: 1-line block ×4, first 2 shown]
s_waitcnt vmcnt(0)                                 // wait C (atomic)

/* issue first atomic writes */
v_mov_b32 v10, v12                                 // v_mov for reordering loaded data
v_mov_b32 v11, v13                                 // v_mov for reordering loaded data
v_add_f64 v[8:9], v[10:11], v[vgprValuC+16:vgprValuC+16+1] // desired value
_buffer_atomic_cmpswap_b64 v[8:11], v6, s[sgprSrdD:sgprSrdD+3] 0 offen offset:0 glc   // attempt write
v_add_f64 v[12:13], v[14:15], v[vgprValuC+18:vgprValuC+18+1] // desired value
_buffer_atomic_cmpswap_b64 v[12:15], v6, s[sgprSrdD:sgprSrdD+3] 0 offen offset:8 glc   // attempt write
v_mov_b32 v26, v28                                 // v_mov for reordering loaded data
v_mov_b32 v27, v29                                 // v_mov for reordering loaded data
v_add_f64 v[24:25], v[26:27], v[vgprValuC+20:vgprValuC+20+1] // desired value
_buffer_atomic_cmpswap_b64 v[24:27], v7, s[sgprSrdD:sgprSrdD+3] 0 offen offset:0 glc   // attempt write
v_add_f64 v[28:29], v[30:31], v[vgprValuC+22:vgprValuC+22+1] // desired value
_buffer_atomic_cmpswap_b64 v[28:31], v7, s[sgprSrdD:sgprSrdD+3] 0 offen offset:8 glc   // attempt write
s_waitcnt vmcnt(0)                                 // wait for atomic writes

/* check success of writes, update masks */
v_cmp_ne_u64 s[54:55], v[8:9], v[10:11]            // c read during atomic != c read during prior load
v_cmp_ne_u64 s[56:57], v[12:13], v[14:15]          // c read during atomic != c read during prior load
v_cmp_ne_u64 s[58:59], v[24:25], v[26:27]          // c read during atomic != c read during prior load
	;; [unrolled: 1-line block ×3, first 2 shown]

/* or masks to check for exit */
s_mov_b64 s[50:51], 0x0                            // empty mask
s_or_b64 s[50:51], s[54:55], s[50:51]              // or to add threads
s_or_b64 s[50:51], s[56:57], s[50:51]              // or to add threads
	;; [unrolled: 1-line block ×4, first 2 shown]
s_or_saveexec_b64 s[52:53], s[50:51]               // apply combined mask
s_cbranch_execz label_0080                         // if exec is zero skip loop

/* atomic CAS loop */
label_0079:

/* apply updated masks and issue writes again */
s_mov_b64 exec, s[54:55]                           // must try again
v_mov_b32 v10, v8                                  // dataV+2 = tmp (new original C)
v_mov_b32 v11, v9                                  // dataV+3 = tmp (new original C)
v_add_f64 v[8:9], v[10:11], v[vgprValuC+16:vgprValuC+16+1] // newC = rC + originalC
_buffer_atomic_cmpswap_b64 v[8:11], v6, s[sgprSrdD:sgprSrdD+3] 0 offen offset:0 glc   // attempt write
s_mov_b64 exec, s[56:57]                           // must try again
v_mov_b32 v14, v12                                 // dataV+2 = tmp (new original C)
v_mov_b32 v15, v13                                 // dataV+3 = tmp (new original C)
v_add_f64 v[12:13], v[14:15], v[vgprValuC+18:vgprValuC+18+1] // newC = rC + originalC
_buffer_atomic_cmpswap_b64 v[12:15], v6, s[sgprSrdD:sgprSrdD+3] 0 offen offset:8 glc   // attempt write
s_mov_b64 exec, s[58:59]                           // must try again
v_mov_b32 v26, v24                                 // dataV+2 = tmp (new original C)
v_mov_b32 v27, v25                                 // dataV+3 = tmp (new original C)
	;; [unrolled: 5-line block ×3, first 2 shown]
v_add_f64 v[28:29], v[30:31], v[vgprValuC+22:vgprValuC+22+1] // newC = rC + originalC
_buffer_atomic_cmpswap_b64 v[28:31], v7, s[sgprSrdD:sgprSrdD+3] 0 offen offset:8 glc   // attempt write
s_waitcnt vmcnt(0)                                 // wait for atomic writes

/* apply masks and check for success */
s_mov_b64 exec, s[54:55]                           // must try again
v_cmp_ne_u64 s[50:51], v[8:9], v[10:11]            // c read during atomic != c read during prior load
s_and_b64 s[54:55], s[50:51], s[54:55]             // inBounds & must try again
s_mov_b64 exec, s[56:57]                           // must try again
v_cmp_ne_u64 s[50:51], v[12:13], v[14:15]          // c read during atomic != c read during prior load
s_and_b64 s[56:57], s[50:51], s[56:57]             // inBounds & must try again
s_mov_b64 exec, s[58:59]                           // must try again
v_cmp_ne_u64 s[50:51], v[24:25], v[26:27]          // c read during atomic != c read during prior load
	;; [unrolled: 3-line block ×3, first 2 shown]
s_and_b64 s[60:61], s[50:51], s[60:61]             // inBounds & must try again

/* or masks to check for exit */
s_mov_b64 s[50:51], 0x0                            // empty mask
s_or_b64 s[50:51], s[54:55], s[50:51]              // or to add threads
s_or_b64 s[50:51], s[56:57], s[50:51]              // or to add threads
	;; [unrolled: 1-line block ×4, first 2 shown]
s_or_saveexec_b64 s[52:53], s[50:51]               // apply combined mask
s_cbranch_execnz label_0079                        // try again if not complete
label_0080:
s_mov_b64 exec, -1                                 // full mask -> exec
s_nop 0                                            // 1 wait state required when next inst writes vgprs held by previous dwordx4 store inst
/* optSingleColVgpr=0 optSharedColVgpr=0 optSGPRUsage=None optSrdIncForRow=0 */
s_sleep 1 // optimization: sync and wait
s_barrier

/******************************************/
/* Global Write Alpha Batch #25 (d1,d0,vc1,vc0) = */
/*    (25,0,0,0:vw2:vaw:1); (25,1,0,0:vw2:vaw:1) */
/******************************************/

/* calc coords, apply mask, and issue loads (if necessary) */
/* (d1,vc1,d0,vc0)=(25,0,0,0) */

/* Fix for UseInitialStridesCD, emitAddressSetupCode */
s_mul_i32 s50, s[sgprStrideC1J], 4                 // scale stride
_v_add_u32 v2, v2, s50                             // ROWINC- Move cinRowPtr to next row
s_mul_i32 s50, s[sgprStrideD1J], 4                 // scale stride
_v_add_u32 v3, v3, s50                             // Move coutRowPtr to next row
_v_add_lshl_u32 v6, v3, v0, 0x3                    // scaleToBpe: accumulate d0 lower and *= bpe into Cin addr
_buffer_load_b128 v[12:15], v6, s[sgprSrdD:sgprSrdD+3], 0, offen offset:0 // load D (atomic) bpm=16 vaw=1
/* (d1,vc1,d0,vc0)=(25,0,1,0) */
s_mov_b32 s50, 128                                 // coordOffset0 d0=1 vc0=0
_v_add_co_u32 v4, vcc, v0, s50                     // coord0.2: coord0 += d0*sg0*VW + vc0
_v_add_lshl_u32 v7, v3, v4, 0x3                    // scaleToBpe: accumulate d0 lower and *= bpe into Cin addr
_buffer_load_b128 v[28:31], v7, s[sgprSrdD:sgprSrdD+3], 0, offen offset:0 // load D (atomic) bpm=16 vaw=1
v_accvgpr_read_b32 v[vgprValuC+16], acc194 // copy acc to vreg[200]
v_accvgpr_read_b32 v[vgprValuC+17], acc195 // copy acc to vreg[201]
v_accvgpr_read_b32 v[vgprValuC+18], acc202 // copy acc to vreg[202]
v_accvgpr_read_b32 v[vgprValuC+19], acc203 // copy acc to vreg[203]
v_accvgpr_read_b32 v[vgprValuC+20], acc210 // copy acc to vreg[204]
v_accvgpr_read_b32 v[vgprValuC+21], acc211 // copy acc to vreg[205]
v_accvgpr_read_b32 v[vgprValuC+22], acc218 // copy acc to vreg[206]
v_accvgpr_read_b32 v[vgprValuC+23], acc219 // copy acc to vreg[207]
s_nop 1                                            // 2 wait states required before reading vgpr

/* rC *= alpha batchElements=[(25, 0, 0, 0), (25, 1, 0, 0)] */
v_mul_f64 v[vgprValuC+16:vgprValuC+16+1], s[sgprAlpha:sgprAlpha+1], v[vgprValuC+16:vgprValuC+16+1] // *= alpha
v_mul_f64 v[vgprValuC+18:vgprValuC+18+1], s[sgprAlpha:sgprAlpha+1], v[vgprValuC+18:vgprValuC+18+1] // *= alpha
	;; [unrolled: 1-line block ×4, first 2 shown]
s_waitcnt vmcnt(0)                                 // wait C (atomic)

/* issue first atomic writes */
v_mov_b32 v10, v12                                 // v_mov for reordering loaded data
v_mov_b32 v11, v13                                 // v_mov for reordering loaded data
v_add_f64 v[8:9], v[10:11], v[vgprValuC+16:vgprValuC+16+1] // desired value
_buffer_atomic_cmpswap_b64 v[8:11], v6, s[sgprSrdD:sgprSrdD+3] 0 offen offset:0 glc   // attempt write
v_add_f64 v[12:13], v[14:15], v[vgprValuC+18:vgprValuC+18+1] // desired value
_buffer_atomic_cmpswap_b64 v[12:15], v6, s[sgprSrdD:sgprSrdD+3] 0 offen offset:8 glc   // attempt write
v_mov_b32 v26, v28                                 // v_mov for reordering loaded data
v_mov_b32 v27, v29                                 // v_mov for reordering loaded data
v_add_f64 v[24:25], v[26:27], v[vgprValuC+20:vgprValuC+20+1] // desired value
_buffer_atomic_cmpswap_b64 v[24:27], v7, s[sgprSrdD:sgprSrdD+3] 0 offen offset:0 glc   // attempt write
v_add_f64 v[28:29], v[30:31], v[vgprValuC+22:vgprValuC+22+1] // desired value
_buffer_atomic_cmpswap_b64 v[28:31], v7, s[sgprSrdD:sgprSrdD+3] 0 offen offset:8 glc   // attempt write
s_waitcnt vmcnt(0)                                 // wait for atomic writes

/* check success of writes, update masks */
v_cmp_ne_u64 s[54:55], v[8:9], v[10:11]            // c read during atomic != c read during prior load
v_cmp_ne_u64 s[56:57], v[12:13], v[14:15]          // c read during atomic != c read during prior load
v_cmp_ne_u64 s[58:59], v[24:25], v[26:27]          // c read during atomic != c read during prior load
	;; [unrolled: 1-line block ×3, first 2 shown]

/* or masks to check for exit */
s_mov_b64 s[50:51], 0x0                            // empty mask
s_or_b64 s[50:51], s[54:55], s[50:51]              // or to add threads
s_or_b64 s[50:51], s[56:57], s[50:51]              // or to add threads
	;; [unrolled: 1-line block ×4, first 2 shown]
s_or_saveexec_b64 s[52:53], s[50:51]               // apply combined mask
s_cbranch_execz label_0082                         // if exec is zero skip loop

/* atomic CAS loop */
label_0081:

/* apply updated masks and issue writes again */
s_mov_b64 exec, s[54:55]                           // must try again
v_mov_b32 v10, v8                                  // dataV+2 = tmp (new original C)
v_mov_b32 v11, v9                                  // dataV+3 = tmp (new original C)
v_add_f64 v[8:9], v[10:11], v[vgprValuC+16:vgprValuC+16+1] // newC = rC + originalC
_buffer_atomic_cmpswap_b64 v[8:11], v6, s[sgprSrdD:sgprSrdD+3] 0 offen offset:0 glc   // attempt write
s_mov_b64 exec, s[56:57]                           // must try again
v_mov_b32 v14, v12                                 // dataV+2 = tmp (new original C)
v_mov_b32 v15, v13                                 // dataV+3 = tmp (new original C)
v_add_f64 v[12:13], v[14:15], v[vgprValuC+18:vgprValuC+18+1] // newC = rC + originalC
_buffer_atomic_cmpswap_b64 v[12:15], v6, s[sgprSrdD:sgprSrdD+3] 0 offen offset:8 glc   // attempt write
s_mov_b64 exec, s[58:59]                           // must try again
v_mov_b32 v26, v24                                 // dataV+2 = tmp (new original C)
v_mov_b32 v27, v25                                 // dataV+3 = tmp (new original C)
	;; [unrolled: 5-line block ×3, first 2 shown]
v_add_f64 v[28:29], v[30:31], v[vgprValuC+22:vgprValuC+22+1] // newC = rC + originalC
_buffer_atomic_cmpswap_b64 v[28:31], v7, s[sgprSrdD:sgprSrdD+3] 0 offen offset:8 glc   // attempt write
s_waitcnt vmcnt(0)                                 // wait for atomic writes

/* apply masks and check for success */
s_mov_b64 exec, s[54:55]                           // must try again
v_cmp_ne_u64 s[50:51], v[8:9], v[10:11]            // c read during atomic != c read during prior load
s_and_b64 s[54:55], s[50:51], s[54:55]             // inBounds & must try again
s_mov_b64 exec, s[56:57]                           // must try again
v_cmp_ne_u64 s[50:51], v[12:13], v[14:15]          // c read during atomic != c read during prior load
s_and_b64 s[56:57], s[50:51], s[56:57]             // inBounds & must try again
s_mov_b64 exec, s[58:59]                           // must try again
v_cmp_ne_u64 s[50:51], v[24:25], v[26:27]          // c read during atomic != c read during prior load
	;; [unrolled: 3-line block ×3, first 2 shown]
s_and_b64 s[60:61], s[50:51], s[60:61]             // inBounds & must try again

/* or masks to check for exit */
s_mov_b64 s[50:51], 0x0                            // empty mask
s_or_b64 s[50:51], s[54:55], s[50:51]              // or to add threads
s_or_b64 s[50:51], s[56:57], s[50:51]              // or to add threads
s_or_b64 s[50:51], s[58:59], s[50:51]              // or to add threads
s_or_b64 s[50:51], s[60:61], s[50:51]              // or to add threads
s_or_saveexec_b64 s[52:53], s[50:51]               // apply combined mask
s_cbranch_execnz label_0081                        // try again if not complete
label_0082:
s_mov_b64 exec, -1                                 // full mask -> exec
s_nop 0                                            // 1 wait state required when next inst writes vgprs held by previous dwordx4 store inst
/* optSingleColVgpr=0 optSharedColVgpr=0 optSGPRUsage=None optSrdIncForRow=0 */
s_sleep 1 // optimization: sync and wait
s_barrier

/******************************************/
/* Global Write Alpha Batch #26 (d1,d0,vc1,vc0) = */
/*    (26,0,0,0:vw2:vaw:1); (26,1,0,0:vw2:vaw:1) */
/******************************************/

/* calc coords, apply mask, and issue loads (if necessary) */
/* (d1,vc1,d0,vc0)=(26,0,0,0) */

/* Fix for UseInitialStridesCD, emitAddressSetupCode */
s_mul_i32 s50, s[sgprStrideC1J], 4                 // scale stride
_v_add_u32 v2, v2, s50                             // ROWINC- Move cinRowPtr to next row
s_mul_i32 s50, s[sgprStrideD1J], 4                 // scale stride
_v_add_u32 v3, v3, s50                             // Move coutRowPtr to next row
_v_add_lshl_u32 v6, v3, v0, 0x3                    // scaleToBpe: accumulate d0 lower and *= bpe into Cin addr
_buffer_load_b128 v[12:15], v6, s[sgprSrdD:sgprSrdD+3], 0, offen offset:0 // load D (atomic) bpm=16 vaw=1
/* (d1,vc1,d0,vc0)=(26,0,1,0) */
s_mov_b32 s50, 128                                 // coordOffset0 d0=1 vc0=0
_v_add_co_u32 v4, vcc, v0, s50                     // coord0.2: coord0 += d0*sg0*VW + vc0
_v_add_lshl_u32 v7, v3, v4, 0x3                    // scaleToBpe: accumulate d0 lower and *= bpe into Cin addr
_buffer_load_b128 v[28:31], v7, s[sgprSrdD:sgprSrdD+3], 0, offen offset:0 // load D (atomic) bpm=16 vaw=1
v_accvgpr_read_b32 v[vgprValuC+16], acc196 // copy acc to vreg[208]
v_accvgpr_read_b32 v[vgprValuC+17], acc197 // copy acc to vreg[209]
v_accvgpr_read_b32 v[vgprValuC+18], acc204 // copy acc to vreg[210]
v_accvgpr_read_b32 v[vgprValuC+19], acc205 // copy acc to vreg[211]
v_accvgpr_read_b32 v[vgprValuC+20], acc212 // copy acc to vreg[212]
v_accvgpr_read_b32 v[vgprValuC+21], acc213 // copy acc to vreg[213]
v_accvgpr_read_b32 v[vgprValuC+22], acc220 // copy acc to vreg[214]
v_accvgpr_read_b32 v[vgprValuC+23], acc221 // copy acc to vreg[215]
s_nop 1                                            // 2 wait states required before reading vgpr

/* rC *= alpha batchElements=[(26, 0, 0, 0), (26, 1, 0, 0)] */
v_mul_f64 v[vgprValuC+16:vgprValuC+16+1], s[sgprAlpha:sgprAlpha+1], v[vgprValuC+16:vgprValuC+16+1] // *= alpha
v_mul_f64 v[vgprValuC+18:vgprValuC+18+1], s[sgprAlpha:sgprAlpha+1], v[vgprValuC+18:vgprValuC+18+1] // *= alpha
	;; [unrolled: 1-line block ×4, first 2 shown]
s_waitcnt vmcnt(0)                                 // wait C (atomic)

/* issue first atomic writes */
v_mov_b32 v10, v12                                 // v_mov for reordering loaded data
v_mov_b32 v11, v13                                 // v_mov for reordering loaded data
v_add_f64 v[8:9], v[10:11], v[vgprValuC+16:vgprValuC+16+1] // desired value
_buffer_atomic_cmpswap_b64 v[8:11], v6, s[sgprSrdD:sgprSrdD+3] 0 offen offset:0 glc   // attempt write
v_add_f64 v[12:13], v[14:15], v[vgprValuC+18:vgprValuC+18+1] // desired value
_buffer_atomic_cmpswap_b64 v[12:15], v6, s[sgprSrdD:sgprSrdD+3] 0 offen offset:8 glc   // attempt write
v_mov_b32 v26, v28                                 // v_mov for reordering loaded data
v_mov_b32 v27, v29                                 // v_mov for reordering loaded data
v_add_f64 v[24:25], v[26:27], v[vgprValuC+20:vgprValuC+20+1] // desired value
_buffer_atomic_cmpswap_b64 v[24:27], v7, s[sgprSrdD:sgprSrdD+3] 0 offen offset:0 glc   // attempt write
v_add_f64 v[28:29], v[30:31], v[vgprValuC+22:vgprValuC+22+1] // desired value
_buffer_atomic_cmpswap_b64 v[28:31], v7, s[sgprSrdD:sgprSrdD+3] 0 offen offset:8 glc   // attempt write
s_waitcnt vmcnt(0)                                 // wait for atomic writes

/* check success of writes, update masks */
v_cmp_ne_u64 s[54:55], v[8:9], v[10:11]            // c read during atomic != c read during prior load
v_cmp_ne_u64 s[56:57], v[12:13], v[14:15]          // c read during atomic != c read during prior load
v_cmp_ne_u64 s[58:59], v[24:25], v[26:27]          // c read during atomic != c read during prior load
	;; [unrolled: 1-line block ×3, first 2 shown]

/* or masks to check for exit */
s_mov_b64 s[50:51], 0x0                            // empty mask
s_or_b64 s[50:51], s[54:55], s[50:51]              // or to add threads
s_or_b64 s[50:51], s[56:57], s[50:51]              // or to add threads
	;; [unrolled: 1-line block ×4, first 2 shown]
s_or_saveexec_b64 s[52:53], s[50:51]               // apply combined mask
s_cbranch_execz label_0084                         // if exec is zero skip loop

/* atomic CAS loop */
label_0083:

/* apply updated masks and issue writes again */
s_mov_b64 exec, s[54:55]                           // must try again
v_mov_b32 v10, v8                                  // dataV+2 = tmp (new original C)
v_mov_b32 v11, v9                                  // dataV+3 = tmp (new original C)
v_add_f64 v[8:9], v[10:11], v[vgprValuC+16:vgprValuC+16+1] // newC = rC + originalC
_buffer_atomic_cmpswap_b64 v[8:11], v6, s[sgprSrdD:sgprSrdD+3] 0 offen offset:0 glc   // attempt write
s_mov_b64 exec, s[56:57]                           // must try again
v_mov_b32 v14, v12                                 // dataV+2 = tmp (new original C)
v_mov_b32 v15, v13                                 // dataV+3 = tmp (new original C)
v_add_f64 v[12:13], v[14:15], v[vgprValuC+18:vgprValuC+18+1] // newC = rC + originalC
_buffer_atomic_cmpswap_b64 v[12:15], v6, s[sgprSrdD:sgprSrdD+3] 0 offen offset:8 glc   // attempt write
s_mov_b64 exec, s[58:59]                           // must try again
v_mov_b32 v26, v24                                 // dataV+2 = tmp (new original C)
v_mov_b32 v27, v25                                 // dataV+3 = tmp (new original C)
	;; [unrolled: 5-line block ×3, first 2 shown]
v_add_f64 v[28:29], v[30:31], v[vgprValuC+22:vgprValuC+22+1] // newC = rC + originalC
_buffer_atomic_cmpswap_b64 v[28:31], v7, s[sgprSrdD:sgprSrdD+3] 0 offen offset:8 glc   // attempt write
s_waitcnt vmcnt(0)                                 // wait for atomic writes

/* apply masks and check for success */
s_mov_b64 exec, s[54:55]                           // must try again
v_cmp_ne_u64 s[50:51], v[8:9], v[10:11]            // c read during atomic != c read during prior load
s_and_b64 s[54:55], s[50:51], s[54:55]             // inBounds & must try again
s_mov_b64 exec, s[56:57]                           // must try again
v_cmp_ne_u64 s[50:51], v[12:13], v[14:15]          // c read during atomic != c read during prior load
s_and_b64 s[56:57], s[50:51], s[56:57]             // inBounds & must try again
s_mov_b64 exec, s[58:59]                           // must try again
v_cmp_ne_u64 s[50:51], v[24:25], v[26:27]          // c read during atomic != c read during prior load
	;; [unrolled: 3-line block ×3, first 2 shown]
s_and_b64 s[60:61], s[50:51], s[60:61]             // inBounds & must try again

/* or masks to check for exit */
s_mov_b64 s[50:51], 0x0                            // empty mask
s_or_b64 s[50:51], s[54:55], s[50:51]              // or to add threads
s_or_b64 s[50:51], s[56:57], s[50:51]              // or to add threads
	;; [unrolled: 1-line block ×4, first 2 shown]
s_or_saveexec_b64 s[52:53], s[50:51]               // apply combined mask
s_cbranch_execnz label_0083                        // try again if not complete
label_0084:
s_mov_b64 exec, -1                                 // full mask -> exec
s_nop 0                                            // 1 wait state required when next inst writes vgprs held by previous dwordx4 store inst
/* optSingleColVgpr=0 optSharedColVgpr=0 optSGPRUsage=None optSrdIncForRow=0 */
s_sleep 1 // optimization: sync and wait
s_barrier

/******************************************/
/* Global Write Alpha Batch #27 (d1,d0,vc1,vc0) = */
/*    (27,0,0,0:vw2:vaw:1); (27,1,0,0:vw2:vaw:1) */
/******************************************/

/* calc coords, apply mask, and issue loads (if necessary) */
/* (d1,vc1,d0,vc0)=(27,0,0,0) */

/* Fix for UseInitialStridesCD, emitAddressSetupCode */
s_mul_i32 s50, s[sgprStrideC1J], 4                 // scale stride
_v_add_u32 v2, v2, s50                             // ROWINC- Move cinRowPtr to next row
s_mul_i32 s50, s[sgprStrideD1J], 4                 // scale stride
_v_add_u32 v3, v3, s50                             // Move coutRowPtr to next row
_v_add_lshl_u32 v6, v3, v0, 0x3                    // scaleToBpe: accumulate d0 lower and *= bpe into Cin addr
_buffer_load_b128 v[12:15], v6, s[sgprSrdD:sgprSrdD+3], 0, offen offset:0 // load D (atomic) bpm=16 vaw=1
/* (d1,vc1,d0,vc0)=(27,0,1,0) */
s_mov_b32 s50, 128                                 // coordOffset0 d0=1 vc0=0
_v_add_co_u32 v4, vcc, v0, s50                     // coord0.2: coord0 += d0*sg0*VW + vc0
_v_add_lshl_u32 v7, v3, v4, 0x3                    // scaleToBpe: accumulate d0 lower and *= bpe into Cin addr
_buffer_load_b128 v[28:31], v7, s[sgprSrdD:sgprSrdD+3], 0, offen offset:0 // load D (atomic) bpm=16 vaw=1
v_accvgpr_read_b32 v[vgprValuC+16], acc198 // copy acc to vreg[216]
v_accvgpr_read_b32 v[vgprValuC+17], acc199 // copy acc to vreg[217]
v_accvgpr_read_b32 v[vgprValuC+18], acc206 // copy acc to vreg[218]
v_accvgpr_read_b32 v[vgprValuC+19], acc207 // copy acc to vreg[219]
v_accvgpr_read_b32 v[vgprValuC+20], acc214 // copy acc to vreg[220]
v_accvgpr_read_b32 v[vgprValuC+21], acc215 // copy acc to vreg[221]
v_accvgpr_read_b32 v[vgprValuC+22], acc222 // copy acc to vreg[222]
v_accvgpr_read_b32 v[vgprValuC+23], acc223 // copy acc to vreg[223]
s_nop 1                                            // 2 wait states required before reading vgpr

/* rC *= alpha batchElements=[(27, 0, 0, 0), (27, 1, 0, 0)] */
v_mul_f64 v[vgprValuC+16:vgprValuC+16+1], s[sgprAlpha:sgprAlpha+1], v[vgprValuC+16:vgprValuC+16+1] // *= alpha
v_mul_f64 v[vgprValuC+18:vgprValuC+18+1], s[sgprAlpha:sgprAlpha+1], v[vgprValuC+18:vgprValuC+18+1] // *= alpha
	;; [unrolled: 1-line block ×4, first 2 shown]
s_waitcnt vmcnt(0)                                 // wait C (atomic)

/* issue first atomic writes */
v_mov_b32 v10, v12                                 // v_mov for reordering loaded data
v_mov_b32 v11, v13                                 // v_mov for reordering loaded data
v_add_f64 v[8:9], v[10:11], v[vgprValuC+16:vgprValuC+16+1] // desired value
_buffer_atomic_cmpswap_b64 v[8:11], v6, s[sgprSrdD:sgprSrdD+3] 0 offen offset:0 glc   // attempt write
v_add_f64 v[12:13], v[14:15], v[vgprValuC+18:vgprValuC+18+1] // desired value
_buffer_atomic_cmpswap_b64 v[12:15], v6, s[sgprSrdD:sgprSrdD+3] 0 offen offset:8 glc   // attempt write
v_mov_b32 v26, v28                                 // v_mov for reordering loaded data
v_mov_b32 v27, v29                                 // v_mov for reordering loaded data
v_add_f64 v[24:25], v[26:27], v[vgprValuC+20:vgprValuC+20+1] // desired value
_buffer_atomic_cmpswap_b64 v[24:27], v7, s[sgprSrdD:sgprSrdD+3] 0 offen offset:0 glc   // attempt write
v_add_f64 v[28:29], v[30:31], v[vgprValuC+22:vgprValuC+22+1] // desired value
_buffer_atomic_cmpswap_b64 v[28:31], v7, s[sgprSrdD:sgprSrdD+3] 0 offen offset:8 glc   // attempt write
s_waitcnt vmcnt(0)                                 // wait for atomic writes

/* check success of writes, update masks */
v_cmp_ne_u64 s[54:55], v[8:9], v[10:11]            // c read during atomic != c read during prior load
v_cmp_ne_u64 s[56:57], v[12:13], v[14:15]          // c read during atomic != c read during prior load
v_cmp_ne_u64 s[58:59], v[24:25], v[26:27]          // c read during atomic != c read during prior load
	;; [unrolled: 1-line block ×3, first 2 shown]

/* or masks to check for exit */
s_mov_b64 s[50:51], 0x0                            // empty mask
s_or_b64 s[50:51], s[54:55], s[50:51]              // or to add threads
s_or_b64 s[50:51], s[56:57], s[50:51]              // or to add threads
	;; [unrolled: 1-line block ×4, first 2 shown]
s_or_saveexec_b64 s[52:53], s[50:51]               // apply combined mask
s_cbranch_execz label_0086                         // if exec is zero skip loop

/* atomic CAS loop */
label_0085:

/* apply updated masks and issue writes again */
s_mov_b64 exec, s[54:55]                           // must try again
v_mov_b32 v10, v8                                  // dataV+2 = tmp (new original C)
v_mov_b32 v11, v9                                  // dataV+3 = tmp (new original C)
v_add_f64 v[8:9], v[10:11], v[vgprValuC+16:vgprValuC+16+1] // newC = rC + originalC
_buffer_atomic_cmpswap_b64 v[8:11], v6, s[sgprSrdD:sgprSrdD+3] 0 offen offset:0 glc   // attempt write
s_mov_b64 exec, s[56:57]                           // must try again
v_mov_b32 v14, v12                                 // dataV+2 = tmp (new original C)
v_mov_b32 v15, v13                                 // dataV+3 = tmp (new original C)
v_add_f64 v[12:13], v[14:15], v[vgprValuC+18:vgprValuC+18+1] // newC = rC + originalC
_buffer_atomic_cmpswap_b64 v[12:15], v6, s[sgprSrdD:sgprSrdD+3] 0 offen offset:8 glc   // attempt write
s_mov_b64 exec, s[58:59]                           // must try again
v_mov_b32 v26, v24                                 // dataV+2 = tmp (new original C)
v_mov_b32 v27, v25                                 // dataV+3 = tmp (new original C)
	;; [unrolled: 5-line block ×3, first 2 shown]
v_add_f64 v[28:29], v[30:31], v[vgprValuC+22:vgprValuC+22+1] // newC = rC + originalC
_buffer_atomic_cmpswap_b64 v[28:31], v7, s[sgprSrdD:sgprSrdD+3] 0 offen offset:8 glc   // attempt write
s_waitcnt vmcnt(0)                                 // wait for atomic writes

/* apply masks and check for success */
s_mov_b64 exec, s[54:55]                           // must try again
v_cmp_ne_u64 s[50:51], v[8:9], v[10:11]            // c read during atomic != c read during prior load
s_and_b64 s[54:55], s[50:51], s[54:55]             // inBounds & must try again
s_mov_b64 exec, s[56:57]                           // must try again
v_cmp_ne_u64 s[50:51], v[12:13], v[14:15]          // c read during atomic != c read during prior load
s_and_b64 s[56:57], s[50:51], s[56:57]             // inBounds & must try again
s_mov_b64 exec, s[58:59]                           // must try again
v_cmp_ne_u64 s[50:51], v[24:25], v[26:27]          // c read during atomic != c read during prior load
	;; [unrolled: 3-line block ×3, first 2 shown]
s_and_b64 s[60:61], s[50:51], s[60:61]             // inBounds & must try again

/* or masks to check for exit */
s_mov_b64 s[50:51], 0x0                            // empty mask
s_or_b64 s[50:51], s[54:55], s[50:51]              // or to add threads
s_or_b64 s[50:51], s[56:57], s[50:51]              // or to add threads
	;; [unrolled: 1-line block ×4, first 2 shown]
s_or_saveexec_b64 s[52:53], s[50:51]               // apply combined mask
s_cbranch_execnz label_0085                        // try again if not complete
label_0086:
s_mov_b64 exec, -1                                 // full mask -> exec
s_nop 0                                            // 1 wait state required when next inst writes vgprs held by previous dwordx4 store inst
/* optSingleColVgpr=0 optSharedColVgpr=0 optSGPRUsage=None optSrdIncForRow=0 */
s_sleep 1 // optimization: sync and wait
s_barrier

/******************************************/
/* Global Write Alpha Batch #28 (d1,d0,vc1,vc0) = */
/*    (28,0,0,0:vw2:vaw:1); (28,1,0,0:vw2:vaw:1) */
/******************************************/

/* calc coords, apply mask, and issue loads (if necessary) */
/* (d1,vc1,d0,vc0)=(28,0,0,0) */

/* Fix for UseInitialStridesCD, emitAddressSetupCode */
s_mul_i32 s50, s[sgprStrideC1J], 4                 // scale stride
_v_add_u32 v2, v2, s50                             // ROWINC- Move cinRowPtr to next row
s_mul_i32 s50, s[sgprStrideD1J], 4                 // scale stride
_v_add_u32 v3, v3, s50                             // Move coutRowPtr to next row
_v_add_lshl_u32 v6, v3, v0, 0x3                    // scaleToBpe: accumulate d0 lower and *= bpe into Cin addr
_buffer_load_b128 v[12:15], v6, s[sgprSrdD:sgprSrdD+3], 0, offen offset:0 // load D (atomic) bpm=16 vaw=1
/* (d1,vc1,d0,vc0)=(28,0,1,0) */
s_mov_b32 s50, 128                                 // coordOffset0 d0=1 vc0=0
_v_add_co_u32 v4, vcc, v0, s50                     // coord0.2: coord0 += d0*sg0*VW + vc0
_v_add_lshl_u32 v7, v3, v4, 0x3                    // scaleToBpe: accumulate d0 lower and *= bpe into Cin addr
_buffer_load_b128 v[28:31], v7, s[sgprSrdD:sgprSrdD+3], 0, offen offset:0 // load D (atomic) bpm=16 vaw=1
v_accvgpr_read_b32 v[vgprValuC+16], acc224 // copy acc to vreg[224]
v_accvgpr_read_b32 v[vgprValuC+17], acc225 // copy acc to vreg[225]
v_accvgpr_read_b32 v[vgprValuC+18], acc232 // copy acc to vreg[226]
v_accvgpr_read_b32 v[vgprValuC+19], acc233 // copy acc to vreg[227]
v_accvgpr_read_b32 v[vgprValuC+20], acc240 // copy acc to vreg[228]
v_accvgpr_read_b32 v[vgprValuC+21], acc241 // copy acc to vreg[229]
v_accvgpr_read_b32 v[vgprValuC+22], acc248 // copy acc to vreg[230]
v_accvgpr_read_b32 v[vgprValuC+23], acc249 // copy acc to vreg[231]
s_nop 1                                            // 2 wait states required before reading vgpr

/* rC *= alpha batchElements=[(28, 0, 0, 0), (28, 1, 0, 0)] */
v_mul_f64 v[vgprValuC+16:vgprValuC+16+1], s[sgprAlpha:sgprAlpha+1], v[vgprValuC+16:vgprValuC+16+1] // *= alpha
v_mul_f64 v[vgprValuC+18:vgprValuC+18+1], s[sgprAlpha:sgprAlpha+1], v[vgprValuC+18:vgprValuC+18+1] // *= alpha
	;; [unrolled: 1-line block ×4, first 2 shown]
s_waitcnt vmcnt(0)                                 // wait C (atomic)

/* issue first atomic writes */
v_mov_b32 v10, v12                                 // v_mov for reordering loaded data
v_mov_b32 v11, v13                                 // v_mov for reordering loaded data
v_add_f64 v[8:9], v[10:11], v[vgprValuC+16:vgprValuC+16+1] // desired value
_buffer_atomic_cmpswap_b64 v[8:11], v6, s[sgprSrdD:sgprSrdD+3] 0 offen offset:0 glc   // attempt write
v_add_f64 v[12:13], v[14:15], v[vgprValuC+18:vgprValuC+18+1] // desired value
_buffer_atomic_cmpswap_b64 v[12:15], v6, s[sgprSrdD:sgprSrdD+3] 0 offen offset:8 glc   // attempt write
v_mov_b32 v26, v28                                 // v_mov for reordering loaded data
v_mov_b32 v27, v29                                 // v_mov for reordering loaded data
v_add_f64 v[24:25], v[26:27], v[vgprValuC+20:vgprValuC+20+1] // desired value
_buffer_atomic_cmpswap_b64 v[24:27], v7, s[sgprSrdD:sgprSrdD+3] 0 offen offset:0 glc   // attempt write
v_add_f64 v[28:29], v[30:31], v[vgprValuC+22:vgprValuC+22+1] // desired value
_buffer_atomic_cmpswap_b64 v[28:31], v7, s[sgprSrdD:sgprSrdD+3] 0 offen offset:8 glc   // attempt write
s_waitcnt vmcnt(0)                                 // wait for atomic writes

/* check success of writes, update masks */
v_cmp_ne_u64 s[54:55], v[8:9], v[10:11]            // c read during atomic != c read during prior load
v_cmp_ne_u64 s[56:57], v[12:13], v[14:15]          // c read during atomic != c read during prior load
v_cmp_ne_u64 s[58:59], v[24:25], v[26:27]          // c read during atomic != c read during prior load
	;; [unrolled: 1-line block ×3, first 2 shown]

/* or masks to check for exit */
s_mov_b64 s[50:51], 0x0                            // empty mask
s_or_b64 s[50:51], s[54:55], s[50:51]              // or to add threads
s_or_b64 s[50:51], s[56:57], s[50:51]              // or to add threads
	;; [unrolled: 1-line block ×4, first 2 shown]
s_or_saveexec_b64 s[52:53], s[50:51]               // apply combined mask
s_cbranch_execz label_0088                         // if exec is zero skip loop

/* atomic CAS loop */
label_0087:

/* apply updated masks and issue writes again */
s_mov_b64 exec, s[54:55]                           // must try again
v_mov_b32 v10, v8                                  // dataV+2 = tmp (new original C)
v_mov_b32 v11, v9                                  // dataV+3 = tmp (new original C)
v_add_f64 v[8:9], v[10:11], v[vgprValuC+16:vgprValuC+16+1] // newC = rC + originalC
_buffer_atomic_cmpswap_b64 v[8:11], v6, s[sgprSrdD:sgprSrdD+3] 0 offen offset:0 glc   // attempt write
s_mov_b64 exec, s[56:57]                           // must try again
v_mov_b32 v14, v12                                 // dataV+2 = tmp (new original C)
v_mov_b32 v15, v13                                 // dataV+3 = tmp (new original C)
v_add_f64 v[12:13], v[14:15], v[vgprValuC+18:vgprValuC+18+1] // newC = rC + originalC
_buffer_atomic_cmpswap_b64 v[12:15], v6, s[sgprSrdD:sgprSrdD+3] 0 offen offset:8 glc   // attempt write
s_mov_b64 exec, s[58:59]                           // must try again
v_mov_b32 v26, v24                                 // dataV+2 = tmp (new original C)
v_mov_b32 v27, v25                                 // dataV+3 = tmp (new original C)
	;; [unrolled: 5-line block ×3, first 2 shown]
v_add_f64 v[28:29], v[30:31], v[vgprValuC+22:vgprValuC+22+1] // newC = rC + originalC
_buffer_atomic_cmpswap_b64 v[28:31], v7, s[sgprSrdD:sgprSrdD+3] 0 offen offset:8 glc   // attempt write
s_waitcnt vmcnt(0)                                 // wait for atomic writes

/* apply masks and check for success */
s_mov_b64 exec, s[54:55]                           // must try again
v_cmp_ne_u64 s[50:51], v[8:9], v[10:11]            // c read during atomic != c read during prior load
s_and_b64 s[54:55], s[50:51], s[54:55]             // inBounds & must try again
s_mov_b64 exec, s[56:57]                           // must try again
v_cmp_ne_u64 s[50:51], v[12:13], v[14:15]          // c read during atomic != c read during prior load
s_and_b64 s[56:57], s[50:51], s[56:57]             // inBounds & must try again
s_mov_b64 exec, s[58:59]                           // must try again
v_cmp_ne_u64 s[50:51], v[24:25], v[26:27]          // c read during atomic != c read during prior load
	;; [unrolled: 3-line block ×3, first 2 shown]
s_and_b64 s[60:61], s[50:51], s[60:61]             // inBounds & must try again

/* or masks to check for exit */
s_mov_b64 s[50:51], 0x0                            // empty mask
s_or_b64 s[50:51], s[54:55], s[50:51]              // or to add threads
s_or_b64 s[50:51], s[56:57], s[50:51]              // or to add threads
	;; [unrolled: 1-line block ×4, first 2 shown]
s_or_saveexec_b64 s[52:53], s[50:51]               // apply combined mask
s_cbranch_execnz label_0087                        // try again if not complete
label_0088:
s_mov_b64 exec, -1                                 // full mask -> exec
s_nop 0                                            // 1 wait state required when next inst writes vgprs held by previous dwordx4 store inst
/* optSingleColVgpr=0 optSharedColVgpr=0 optSGPRUsage=None optSrdIncForRow=0 */
s_sleep 1 // optimization: sync and wait
s_barrier

/******************************************/
/* Global Write Alpha Batch #29 (d1,d0,vc1,vc0) = */
/*    (29,0,0,0:vw2:vaw:1); (29,1,0,0:vw2:vaw:1) */
/******************************************/

/* calc coords, apply mask, and issue loads (if necessary) */
/* (d1,vc1,d0,vc0)=(29,0,0,0) */

/* Fix for UseInitialStridesCD, emitAddressSetupCode */
s_mul_i32 s50, s[sgprStrideC1J], 4                 // scale stride
_v_add_u32 v2, v2, s50                             // ROWINC- Move cinRowPtr to next row
s_mul_i32 s50, s[sgprStrideD1J], 4                 // scale stride
_v_add_u32 v3, v3, s50                             // Move coutRowPtr to next row
_v_add_lshl_u32 v6, v3, v0, 0x3                    // scaleToBpe: accumulate d0 lower and *= bpe into Cin addr
_buffer_load_b128 v[12:15], v6, s[sgprSrdD:sgprSrdD+3], 0, offen offset:0 // load D (atomic) bpm=16 vaw=1
/* (d1,vc1,d0,vc0)=(29,0,1,0) */
s_mov_b32 s50, 128                                 // coordOffset0 d0=1 vc0=0
_v_add_co_u32 v4, vcc, v0, s50                     // coord0.2: coord0 += d0*sg0*VW + vc0
_v_add_lshl_u32 v7, v3, v4, 0x3                    // scaleToBpe: accumulate d0 lower and *= bpe into Cin addr
_buffer_load_b128 v[28:31], v7, s[sgprSrdD:sgprSrdD+3], 0, offen offset:0 // load D (atomic) bpm=16 vaw=1
v_accvgpr_read_b32 v[vgprValuC+16], acc226 // copy acc to vreg[232]
v_accvgpr_read_b32 v[vgprValuC+17], acc227 // copy acc to vreg[233]
v_accvgpr_read_b32 v[vgprValuC+18], acc234 // copy acc to vreg[234]
v_accvgpr_read_b32 v[vgprValuC+19], acc235 // copy acc to vreg[235]
v_accvgpr_read_b32 v[vgprValuC+20], acc242 // copy acc to vreg[236]
v_accvgpr_read_b32 v[vgprValuC+21], acc243 // copy acc to vreg[237]
v_accvgpr_read_b32 v[vgprValuC+22], acc250 // copy acc to vreg[238]
v_accvgpr_read_b32 v[vgprValuC+23], acc251 // copy acc to vreg[239]
s_nop 1                                            // 2 wait states required before reading vgpr

/* rC *= alpha batchElements=[(29, 0, 0, 0), (29, 1, 0, 0)] */
v_mul_f64 v[vgprValuC+16:vgprValuC+16+1], s[sgprAlpha:sgprAlpha+1], v[vgprValuC+16:vgprValuC+16+1] // *= alpha
v_mul_f64 v[vgprValuC+18:vgprValuC+18+1], s[sgprAlpha:sgprAlpha+1], v[vgprValuC+18:vgprValuC+18+1] // *= alpha
	;; [unrolled: 1-line block ×4, first 2 shown]
s_waitcnt vmcnt(0)                                 // wait C (atomic)

/* issue first atomic writes */
v_mov_b32 v10, v12                                 // v_mov for reordering loaded data
v_mov_b32 v11, v13                                 // v_mov for reordering loaded data
v_add_f64 v[8:9], v[10:11], v[vgprValuC+16:vgprValuC+16+1] // desired value
_buffer_atomic_cmpswap_b64 v[8:11], v6, s[sgprSrdD:sgprSrdD+3] 0 offen offset:0 glc   // attempt write
v_add_f64 v[12:13], v[14:15], v[vgprValuC+18:vgprValuC+18+1] // desired value
_buffer_atomic_cmpswap_b64 v[12:15], v6, s[sgprSrdD:sgprSrdD+3] 0 offen offset:8 glc   // attempt write
v_mov_b32 v26, v28                                 // v_mov for reordering loaded data
v_mov_b32 v27, v29                                 // v_mov for reordering loaded data
v_add_f64 v[24:25], v[26:27], v[vgprValuC+20:vgprValuC+20+1] // desired value
_buffer_atomic_cmpswap_b64 v[24:27], v7, s[sgprSrdD:sgprSrdD+3] 0 offen offset:0 glc   // attempt write
v_add_f64 v[28:29], v[30:31], v[vgprValuC+22:vgprValuC+22+1] // desired value
_buffer_atomic_cmpswap_b64 v[28:31], v7, s[sgprSrdD:sgprSrdD+3] 0 offen offset:8 glc   // attempt write
s_waitcnt vmcnt(0)                                 // wait for atomic writes

/* check success of writes, update masks */
v_cmp_ne_u64 s[54:55], v[8:9], v[10:11]            // c read during atomic != c read during prior load
v_cmp_ne_u64 s[56:57], v[12:13], v[14:15]          // c read during atomic != c read during prior load
v_cmp_ne_u64 s[58:59], v[24:25], v[26:27]          // c read during atomic != c read during prior load
	;; [unrolled: 1-line block ×3, first 2 shown]

/* or masks to check for exit */
s_mov_b64 s[50:51], 0x0                            // empty mask
s_or_b64 s[50:51], s[54:55], s[50:51]              // or to add threads
s_or_b64 s[50:51], s[56:57], s[50:51]              // or to add threads
s_or_b64 s[50:51], s[58:59], s[50:51]              // or to add threads
s_or_b64 s[50:51], s[60:61], s[50:51]              // or to add threads
s_or_saveexec_b64 s[52:53], s[50:51]               // apply combined mask
s_cbranch_execz label_0090                         // if exec is zero skip loop

/* atomic CAS loop */
label_0089:

/* apply updated masks and issue writes again */
s_mov_b64 exec, s[54:55]                           // must try again
v_mov_b32 v10, v8                                  // dataV+2 = tmp (new original C)
v_mov_b32 v11, v9                                  // dataV+3 = tmp (new original C)
v_add_f64 v[8:9], v[10:11], v[vgprValuC+16:vgprValuC+16+1] // newC = rC + originalC
_buffer_atomic_cmpswap_b64 v[8:11], v6, s[sgprSrdD:sgprSrdD+3] 0 offen offset:0 glc   // attempt write
s_mov_b64 exec, s[56:57]                           // must try again
v_mov_b32 v14, v12                                 // dataV+2 = tmp (new original C)
v_mov_b32 v15, v13                                 // dataV+3 = tmp (new original C)
v_add_f64 v[12:13], v[14:15], v[vgprValuC+18:vgprValuC+18+1] // newC = rC + originalC
_buffer_atomic_cmpswap_b64 v[12:15], v6, s[sgprSrdD:sgprSrdD+3] 0 offen offset:8 glc   // attempt write
s_mov_b64 exec, s[58:59]                           // must try again
v_mov_b32 v26, v24                                 // dataV+2 = tmp (new original C)
v_mov_b32 v27, v25                                 // dataV+3 = tmp (new original C)
	;; [unrolled: 5-line block ×3, first 2 shown]
v_add_f64 v[28:29], v[30:31], v[vgprValuC+22:vgprValuC+22+1] // newC = rC + originalC
_buffer_atomic_cmpswap_b64 v[28:31], v7, s[sgprSrdD:sgprSrdD+3] 0 offen offset:8 glc   // attempt write
s_waitcnt vmcnt(0)                                 // wait for atomic writes

/* apply masks and check for success */
s_mov_b64 exec, s[54:55]                           // must try again
v_cmp_ne_u64 s[50:51], v[8:9], v[10:11]            // c read during atomic != c read during prior load
s_and_b64 s[54:55], s[50:51], s[54:55]             // inBounds & must try again
s_mov_b64 exec, s[56:57]                           // must try again
v_cmp_ne_u64 s[50:51], v[12:13], v[14:15]          // c read during atomic != c read during prior load
s_and_b64 s[56:57], s[50:51], s[56:57]             // inBounds & must try again
s_mov_b64 exec, s[58:59]                           // must try again
v_cmp_ne_u64 s[50:51], v[24:25], v[26:27]          // c read during atomic != c read during prior load
	;; [unrolled: 3-line block ×3, first 2 shown]
s_and_b64 s[60:61], s[50:51], s[60:61]             // inBounds & must try again

/* or masks to check for exit */
s_mov_b64 s[50:51], 0x0                            // empty mask
s_or_b64 s[50:51], s[54:55], s[50:51]              // or to add threads
s_or_b64 s[50:51], s[56:57], s[50:51]              // or to add threads
	;; [unrolled: 1-line block ×4, first 2 shown]
s_or_saveexec_b64 s[52:53], s[50:51]               // apply combined mask
s_cbranch_execnz label_0089                        // try again if not complete
label_0090:
s_mov_b64 exec, -1                                 // full mask -> exec
s_nop 0                                            // 1 wait state required when next inst writes vgprs held by previous dwordx4 store inst
/* optSingleColVgpr=0 optSharedColVgpr=0 optSGPRUsage=None optSrdIncForRow=0 */
s_sleep 1 // optimization: sync and wait
s_barrier

/******************************************/
/* Global Write Alpha Batch #30 (d1,d0,vc1,vc0) = */
/*    (30,0,0,0:vw2:vaw:1); (30,1,0,0:vw2:vaw:1) */
/******************************************/

/* calc coords, apply mask, and issue loads (if necessary) */
/* (d1,vc1,d0,vc0)=(30,0,0,0) */

/* Fix for UseInitialStridesCD, emitAddressSetupCode */
s_mul_i32 s50, s[sgprStrideC1J], 4                 // scale stride
_v_add_u32 v2, v2, s50                             // ROWINC- Move cinRowPtr to next row
s_mul_i32 s50, s[sgprStrideD1J], 4                 // scale stride
_v_add_u32 v3, v3, s50                             // Move coutRowPtr to next row
_v_add_lshl_u32 v6, v3, v0, 0x3                    // scaleToBpe: accumulate d0 lower and *= bpe into Cin addr
_buffer_load_b128 v[12:15], v6, s[sgprSrdD:sgprSrdD+3], 0, offen offset:0 // load D (atomic) bpm=16 vaw=1
/* (d1,vc1,d0,vc0)=(30,0,1,0) */
s_mov_b32 s50, 128                                 // coordOffset0 d0=1 vc0=0
_v_add_co_u32 v4, vcc, v0, s50                     // coord0.2: coord0 += d0*sg0*VW + vc0
_v_add_lshl_u32 v7, v3, v4, 0x3                    // scaleToBpe: accumulate d0 lower and *= bpe into Cin addr
_buffer_load_b128 v[28:31], v7, s[sgprSrdD:sgprSrdD+3], 0, offen offset:0 // load D (atomic) bpm=16 vaw=1
v_accvgpr_read_b32 v[vgprValuC+16], acc228 // copy acc to vreg[240]
v_accvgpr_read_b32 v[vgprValuC+17], acc229 // copy acc to vreg[241]
v_accvgpr_read_b32 v[vgprValuC+18], acc236 // copy acc to vreg[242]
v_accvgpr_read_b32 v[vgprValuC+19], acc237 // copy acc to vreg[243]
v_accvgpr_read_b32 v[vgprValuC+20], acc244 // copy acc to vreg[244]
v_accvgpr_read_b32 v[vgprValuC+21], acc245 // copy acc to vreg[245]
v_accvgpr_read_b32 v[vgprValuC+22], acc252 // copy acc to vreg[246]
v_accvgpr_read_b32 v[vgprValuC+23], acc253 // copy acc to vreg[247]
s_nop 1                                            // 2 wait states required before reading vgpr

/* rC *= alpha batchElements=[(30, 0, 0, 0), (30, 1, 0, 0)] */
v_mul_f64 v[vgprValuC+16:vgprValuC+16+1], s[sgprAlpha:sgprAlpha+1], v[vgprValuC+16:vgprValuC+16+1] // *= alpha
v_mul_f64 v[vgprValuC+18:vgprValuC+18+1], s[sgprAlpha:sgprAlpha+1], v[vgprValuC+18:vgprValuC+18+1] // *= alpha
	;; [unrolled: 1-line block ×4, first 2 shown]
s_waitcnt vmcnt(0)                                 // wait C (atomic)

/* issue first atomic writes */
v_mov_b32 v10, v12                                 // v_mov for reordering loaded data
v_mov_b32 v11, v13                                 // v_mov for reordering loaded data
v_add_f64 v[8:9], v[10:11], v[vgprValuC+16:vgprValuC+16+1] // desired value
_buffer_atomic_cmpswap_b64 v[8:11], v6, s[sgprSrdD:sgprSrdD+3] 0 offen offset:0 glc   // attempt write
v_add_f64 v[12:13], v[14:15], v[vgprValuC+18:vgprValuC+18+1] // desired value
_buffer_atomic_cmpswap_b64 v[12:15], v6, s[sgprSrdD:sgprSrdD+3] 0 offen offset:8 glc   // attempt write
v_mov_b32 v26, v28                                 // v_mov for reordering loaded data
v_mov_b32 v27, v29                                 // v_mov for reordering loaded data
v_add_f64 v[24:25], v[26:27], v[vgprValuC+20:vgprValuC+20+1] // desired value
_buffer_atomic_cmpswap_b64 v[24:27], v7, s[sgprSrdD:sgprSrdD+3] 0 offen offset:0 glc   // attempt write
v_add_f64 v[28:29], v[30:31], v[vgprValuC+22:vgprValuC+22+1] // desired value
_buffer_atomic_cmpswap_b64 v[28:31], v7, s[sgprSrdD:sgprSrdD+3] 0 offen offset:8 glc   // attempt write
s_waitcnt vmcnt(0)                                 // wait for atomic writes

/* check success of writes, update masks */
v_cmp_ne_u64 s[54:55], v[8:9], v[10:11]            // c read during atomic != c read during prior load
v_cmp_ne_u64 s[56:57], v[12:13], v[14:15]          // c read during atomic != c read during prior load
v_cmp_ne_u64 s[58:59], v[24:25], v[26:27]          // c read during atomic != c read during prior load
v_cmp_ne_u64 s[60:61], v[28:29], v[30:31]          // c read during atomic != c read during prior load

/* or masks to check for exit */
s_mov_b64 s[50:51], 0x0                            // empty mask
s_or_b64 s[50:51], s[54:55], s[50:51]              // or to add threads
s_or_b64 s[50:51], s[56:57], s[50:51]              // or to add threads
	;; [unrolled: 1-line block ×4, first 2 shown]
s_or_saveexec_b64 s[52:53], s[50:51]               // apply combined mask
s_cbranch_execz label_0092                         // if exec is zero skip loop

/* atomic CAS loop */
label_0091:

/* apply updated masks and issue writes again */
s_mov_b64 exec, s[54:55]                           // must try again
v_mov_b32 v10, v8                                  // dataV+2 = tmp (new original C)
v_mov_b32 v11, v9                                  // dataV+3 = tmp (new original C)
v_add_f64 v[8:9], v[10:11], v[vgprValuC+16:vgprValuC+16+1] // newC = rC + originalC
_buffer_atomic_cmpswap_b64 v[8:11], v6, s[sgprSrdD:sgprSrdD+3] 0 offen offset:0 glc   // attempt write
s_mov_b64 exec, s[56:57]                           // must try again
v_mov_b32 v14, v12                                 // dataV+2 = tmp (new original C)
v_mov_b32 v15, v13                                 // dataV+3 = tmp (new original C)
v_add_f64 v[12:13], v[14:15], v[vgprValuC+18:vgprValuC+18+1] // newC = rC + originalC
_buffer_atomic_cmpswap_b64 v[12:15], v6, s[sgprSrdD:sgprSrdD+3] 0 offen offset:8 glc   // attempt write
s_mov_b64 exec, s[58:59]                           // must try again
v_mov_b32 v26, v24                                 // dataV+2 = tmp (new original C)
v_mov_b32 v27, v25                                 // dataV+3 = tmp (new original C)
	;; [unrolled: 5-line block ×3, first 2 shown]
v_add_f64 v[28:29], v[30:31], v[vgprValuC+22:vgprValuC+22+1] // newC = rC + originalC
_buffer_atomic_cmpswap_b64 v[28:31], v7, s[sgprSrdD:sgprSrdD+3] 0 offen offset:8 glc   // attempt write
s_waitcnt vmcnt(0)                                 // wait for atomic writes

/* apply masks and check for success */
s_mov_b64 exec, s[54:55]                           // must try again
v_cmp_ne_u64 s[50:51], v[8:9], v[10:11]            // c read during atomic != c read during prior load
s_and_b64 s[54:55], s[50:51], s[54:55]             // inBounds & must try again
s_mov_b64 exec, s[56:57]                           // must try again
v_cmp_ne_u64 s[50:51], v[12:13], v[14:15]          // c read during atomic != c read during prior load
s_and_b64 s[56:57], s[50:51], s[56:57]             // inBounds & must try again
s_mov_b64 exec, s[58:59]                           // must try again
v_cmp_ne_u64 s[50:51], v[24:25], v[26:27]          // c read during atomic != c read during prior load
	;; [unrolled: 3-line block ×3, first 2 shown]
s_and_b64 s[60:61], s[50:51], s[60:61]             // inBounds & must try again

/* or masks to check for exit */
s_mov_b64 s[50:51], 0x0                            // empty mask
s_or_b64 s[50:51], s[54:55], s[50:51]              // or to add threads
s_or_b64 s[50:51], s[56:57], s[50:51]              // or to add threads
	;; [unrolled: 1-line block ×4, first 2 shown]
s_or_saveexec_b64 s[52:53], s[50:51]               // apply combined mask
s_cbranch_execnz label_0091                        // try again if not complete
label_0092:
s_mov_b64 exec, -1                                 // full mask -> exec
s_nop 0                                            // 1 wait state required when next inst writes vgprs held by previous dwordx4 store inst
/* optSingleColVgpr=0 optSharedColVgpr=0 optSGPRUsage=None optSrdIncForRow=0 */
s_sleep 1 // optimization: sync and wait
s_barrier

/******************************************/
/* Global Write Alpha Batch #31 (d1,d0,vc1,vc0) = */
/*    (31,0,0,0:vw2:vaw:1); (31,1,0,0:vw2:vaw:1) */
/******************************************/

/* calc coords, apply mask, and issue loads (if necessary) */
/* (d1,vc1,d0,vc0)=(31,0,0,0) */

/* Fix for UseInitialStridesCD, emitAddressSetupCode */
s_mul_i32 s50, s[sgprStrideC1J], 4                 // scale stride
_v_add_u32 v2, v2, s50                             // ROWINC- Move cinRowPtr to next row
s_mul_i32 s50, s[sgprStrideD1J], 4                 // scale stride
_v_add_u32 v3, v3, s50                             // Move coutRowPtr to next row
_v_add_lshl_u32 v6, v3, v0, 0x3                    // scaleToBpe: accumulate d0 lower and *= bpe into Cin addr
_buffer_load_b128 v[12:15], v6, s[sgprSrdD:sgprSrdD+3], 0, offen offset:0 // load D (atomic) bpm=16 vaw=1
/* (d1,vc1,d0,vc0)=(31,0,1,0) */
s_mov_b32 s50, 128                                 // coordOffset0 d0=1 vc0=0
_v_add_co_u32 v4, vcc, v0, s50                     // coord0.2: coord0 += d0*sg0*VW + vc0
_v_add_lshl_u32 v7, v3, v4, 0x3                    // scaleToBpe: accumulate d0 lower and *= bpe into Cin addr
_buffer_load_b128 v[28:31], v7, s[sgprSrdD:sgprSrdD+3], 0, offen offset:0 // load D (atomic) bpm=16 vaw=1
v_accvgpr_read_b32 v[vgprValuC+16], acc230 // copy acc to vreg[248]
v_accvgpr_read_b32 v[vgprValuC+17], acc231 // copy acc to vreg[249]
v_accvgpr_read_b32 v[vgprValuC+18], acc238 // copy acc to vreg[250]
v_accvgpr_read_b32 v[vgprValuC+19], acc239 // copy acc to vreg[251]
v_accvgpr_read_b32 v[vgprValuC+20], acc246 // copy acc to vreg[252]
v_accvgpr_read_b32 v[vgprValuC+21], acc247 // copy acc to vreg[253]
v_accvgpr_read_b32 v[vgprValuC+22], acc254 // copy acc to vreg[254]
v_accvgpr_read_b32 v[vgprValuC+23], acc255 // copy acc to vreg[255]
s_nop 1                                            // 2 wait states required before reading vgpr

/* rC *= alpha batchElements=[(31, 0, 0, 0), (31, 1, 0, 0)] */
v_mul_f64 v[vgprValuC+16:vgprValuC+16+1], s[sgprAlpha:sgprAlpha+1], v[vgprValuC+16:vgprValuC+16+1] // *= alpha
v_mul_f64 v[vgprValuC+18:vgprValuC+18+1], s[sgprAlpha:sgprAlpha+1], v[vgprValuC+18:vgprValuC+18+1] // *= alpha
	;; [unrolled: 1-line block ×4, first 2 shown]
s_waitcnt vmcnt(0)                                 // wait C (atomic)

/* issue first atomic writes */
v_mov_b32 v10, v12                                 // v_mov for reordering loaded data
v_mov_b32 v11, v13                                 // v_mov for reordering loaded data
v_add_f64 v[8:9], v[10:11], v[vgprValuC+16:vgprValuC+16+1] // desired value
_buffer_atomic_cmpswap_b64 v[8:11], v6, s[sgprSrdD:sgprSrdD+3] 0 offen offset:0 glc   // attempt write
v_add_f64 v[12:13], v[14:15], v[vgprValuC+18:vgprValuC+18+1] // desired value
_buffer_atomic_cmpswap_b64 v[12:15], v6, s[sgprSrdD:sgprSrdD+3] 0 offen offset:8 glc   // attempt write
v_mov_b32 v26, v28                                 // v_mov for reordering loaded data
v_mov_b32 v27, v29                                 // v_mov for reordering loaded data
v_add_f64 v[24:25], v[26:27], v[vgprValuC+20:vgprValuC+20+1] // desired value
_buffer_atomic_cmpswap_b64 v[24:27], v7, s[sgprSrdD:sgprSrdD+3] 0 offen offset:0 glc   // attempt write
v_add_f64 v[28:29], v[30:31], v[vgprValuC+22:vgprValuC+22+1] // desired value
_buffer_atomic_cmpswap_b64 v[28:31], v7, s[sgprSrdD:sgprSrdD+3] 0 offen offset:8 glc   // attempt write
s_waitcnt vmcnt(0)                                 // wait for atomic writes

/* check success of writes, update masks */
v_cmp_ne_u64 s[54:55], v[8:9], v[10:11]            // c read during atomic != c read during prior load
v_cmp_ne_u64 s[56:57], v[12:13], v[14:15]          // c read during atomic != c read during prior load
v_cmp_ne_u64 s[58:59], v[24:25], v[26:27]          // c read during atomic != c read during prior load
	;; [unrolled: 1-line block ×3, first 2 shown]

/* or masks to check for exit */
s_mov_b64 s[50:51], 0x0                            // empty mask
s_or_b64 s[50:51], s[54:55], s[50:51]              // or to add threads
s_or_b64 s[50:51], s[56:57], s[50:51]              // or to add threads
s_or_b64 s[50:51], s[58:59], s[50:51]              // or to add threads
s_or_b64 s[50:51], s[60:61], s[50:51]              // or to add threads
s_or_saveexec_b64 s[52:53], s[50:51]               // apply combined mask
s_cbranch_execz label_0094                         // if exec is zero skip loop

/* atomic CAS loop */
label_0093:

/* apply updated masks and issue writes again */
s_mov_b64 exec, s[54:55]                           // must try again
v_mov_b32 v10, v8                                  // dataV+2 = tmp (new original C)
v_mov_b32 v11, v9                                  // dataV+3 = tmp (new original C)
v_add_f64 v[8:9], v[10:11], v[vgprValuC+16:vgprValuC+16+1] // newC = rC + originalC
_buffer_atomic_cmpswap_b64 v[8:11], v6, s[sgprSrdD:sgprSrdD+3] 0 offen offset:0 glc   // attempt write
s_mov_b64 exec, s[56:57]                           // must try again
v_mov_b32 v14, v12                                 // dataV+2 = tmp (new original C)
v_mov_b32 v15, v13                                 // dataV+3 = tmp (new original C)
v_add_f64 v[12:13], v[14:15], v[vgprValuC+18:vgprValuC+18+1] // newC = rC + originalC
_buffer_atomic_cmpswap_b64 v[12:15], v6, s[sgprSrdD:sgprSrdD+3] 0 offen offset:8 glc   // attempt write
s_mov_b64 exec, s[58:59]                           // must try again
v_mov_b32 v26, v24                                 // dataV+2 = tmp (new original C)
v_mov_b32 v27, v25                                 // dataV+3 = tmp (new original C)
	;; [unrolled: 5-line block ×3, first 2 shown]
v_add_f64 v[28:29], v[30:31], v[vgprValuC+22:vgprValuC+22+1] // newC = rC + originalC
_buffer_atomic_cmpswap_b64 v[28:31], v7, s[sgprSrdD:sgprSrdD+3] 0 offen offset:8 glc   // attempt write
s_waitcnt vmcnt(0)                                 // wait for atomic writes

/* apply masks and check for success */
s_mov_b64 exec, s[54:55]                           // must try again
v_cmp_ne_u64 s[50:51], v[8:9], v[10:11]            // c read during atomic != c read during prior load
s_and_b64 s[54:55], s[50:51], s[54:55]             // inBounds & must try again
s_mov_b64 exec, s[56:57]                           // must try again
v_cmp_ne_u64 s[50:51], v[12:13], v[14:15]          // c read during atomic != c read during prior load
s_and_b64 s[56:57], s[50:51], s[56:57]             // inBounds & must try again
s_mov_b64 exec, s[58:59]                           // must try again
v_cmp_ne_u64 s[50:51], v[24:25], v[26:27]          // c read during atomic != c read during prior load
	;; [unrolled: 3-line block ×3, first 2 shown]
s_and_b64 s[60:61], s[50:51], s[60:61]             // inBounds & must try again

/* or masks to check for exit */
s_mov_b64 s[50:51], 0x0                            // empty mask
s_or_b64 s[50:51], s[54:55], s[50:51]              // or to add threads
s_or_b64 s[50:51], s[56:57], s[50:51]              // or to add threads
	;; [unrolled: 1-line block ×4, first 2 shown]
s_or_saveexec_b64 s[52:53], s[50:51]               // apply combined mask
s_cbranch_execnz label_0093                        // try again if not complete
label_0094:
s_mov_b64 exec, -1                                 // full mask -> exec
s_nop 0                                            // 1 wait state required when next inst writes vgprs held by previous dwordx4 store inst
s_branch label_GW_End_26                           // jump to end
GW_B0_E1_24:

/* edge=1, allocate 12 sgpr. perBatchTmpS=4 perBatchMaskS=0 perElementMaskS=4 elementsPerBatch=2 */
/* optSingleColVgpr=0 optSharedColVgpr=0 optSGPRUsage=None optSrdIncForRow=0 */
s_sleep 1 // optimization: sync and wait
s_barrier

/******************************************/
/* Global Write Alpha Edge Batch #0 (d1,d0,vc1,vc0) = */
/*    (0,0,0,0:vw2:vaw:1); (0,1,0,0:vw2:vaw:1) */
/******************************************/

/* calc coords, apply mask, and issue loads (if necessary) */
/* (d1,vc1,d0,vc0)=(0,0,0,0) */
v_cmp_lt_u32 s[50:51], v0, s[sgprSizeI]            // coord0 < size0
v_cmp_lt_u32 s[54:55], v1, s[sgprSizeJ]            // coord1 < size1
s_and_b64 s[54:55], s[50:51], s[54:55]             // in0 && in1
_v_add_lshl_u32 v6, v3, v0, 0x3                    // scaleToBpe: accumulate d0 lower and *= bpe into Cin addr
v_cndmask_b32 v6, -1, v6, s[54:55]                 // LDD clip if OOB. offset
_buffer_load_b128 v[12:15], v6, s[sgprSrdD:sgprSrdD+3], 0, offen offset:0 // load D (atomic) bpm=16 vaw=1
/* (d1,vc1,d0,vc0)=(0,0,1,0) */
s_mov_b32 s50, 128                                 // coordOffset0 d0=1 vc0=0
_v_add_co_u32 v4, vcc, v0, s50                     // coord0.2: coord0 += d0*sg0*VW + vc0
v_cmp_lt_u32 s[50:51], v4, s[sgprSizeI]            // coord0 < size0
v_cmp_lt_u32 s[58:59], v1, s[sgprSizeJ]            // coord1 < size1
s_and_b64 s[58:59], s[50:51], s[58:59]             // in0 && in1
_v_add_lshl_u32 v7, v3, v4, 0x3                    // scaleToBpe: accumulate d0 lower and *= bpe into Cin addr
v_cndmask_b32 v7, -1, v7, s[58:59]                 // LDD clip if OOB. offset
_buffer_load_b128 v[28:31], v7, s[sgprSrdD:sgprSrdD+3], 0, offen offset:0 // load D (atomic) bpm=16 vaw=1
v_accvgpr_read_b32 v[vgprValuC+16], acc0 // copy acc to vreg[0]
v_accvgpr_read_b32 v[vgprValuC+17], acc1 // copy acc to vreg[1]
v_accvgpr_read_b32 v[vgprValuC+18], acc8 // copy acc to vreg[2]
v_accvgpr_read_b32 v[vgprValuC+19], acc9 // copy acc to vreg[3]
v_accvgpr_read_b32 v[vgprValuC+20], acc16 // copy acc to vreg[4]
v_accvgpr_read_b32 v[vgprValuC+21], acc17 // copy acc to vreg[5]
v_accvgpr_read_b32 v[vgprValuC+22], acc24 // copy acc to vreg[6]
v_accvgpr_read_b32 v[vgprValuC+23], acc25 // copy acc to vreg[7]
s_nop 1                                            // 2 wait states required before reading vgpr

/* rC *= alpha batchElements=[(0, 0, 0, 0), (0, 1, 0, 0)] */
v_mul_f64 v[vgprValuC+16:vgprValuC+16+1], s[sgprAlpha:sgprAlpha+1], v[vgprValuC+16:vgprValuC+16+1] // *= alpha
v_mul_f64 v[vgprValuC+18:vgprValuC+18+1], s[sgprAlpha:sgprAlpha+1], v[vgprValuC+18:vgprValuC+18+1] // *= alpha
	;; [unrolled: 1-line block ×4, first 2 shown]
s_waitcnt vmcnt(0)                                 // wait C (atomic)

/* issue first atomic writes */
s_mov_b64 exec, s[54:55]                           // sgprs -> exec (before atomic)
v_mov_b32 v10, v12                                 // v_mov for reordering loaded data
v_mov_b32 v11, v13                                 // v_mov for reordering loaded data
v_add_f64 v[8:9], v[10:11], v[vgprValuC+16:vgprValuC+16+1] // desired value
_buffer_atomic_cmpswap_b64 v[8:11], v6, s[sgprSrdD:sgprSrdD+3] 0 offen offset:0 glc   // attempt write
v_add_f64 v[12:13], v[14:15], v[vgprValuC+18:vgprValuC+18+1] // desired value
_buffer_atomic_cmpswap_b64 v[12:15], v6, s[sgprSrdD:sgprSrdD+3] 0 offen offset:8 glc   // attempt write
s_mov_b64 exec, s[58:59]                           // sgprs -> exec (before atomic)
v_mov_b32 v26, v28                                 // v_mov for reordering loaded data
v_mov_b32 v27, v29                                 // v_mov for reordering loaded data
v_add_f64 v[24:25], v[26:27], v[vgprValuC+20:vgprValuC+20+1] // desired value
_buffer_atomic_cmpswap_b64 v[24:27], v7, s[sgprSrdD:sgprSrdD+3] 0 offen offset:0 glc   // attempt write
v_add_f64 v[28:29], v[30:31], v[vgprValuC+22:vgprValuC+22+1] // desired value
_buffer_atomic_cmpswap_b64 v[28:31], v7, s[sgprSrdD:sgprSrdD+3] 0 offen offset:8 glc   // attempt write
s_mov_b64 s[56:57], s[54:55]                       // copy out of range mask from the first one
s_mov_b64 s[60:61], s[58:59]                       // copy out of range mask from the first one
s_waitcnt vmcnt(0)                                 // wait for atomic writes

/* check success of writes, update masks */
s_mov_b64 exec, s[54:55]                           // sgprs -> exec
v_cmp_ne_u64 s[50:51], v[8:9], v[10:11]            // c read during atomic != c read during prior load
s_and_b64 s[54:55], s[50:51], s[54:55]             // inBounds & must try again
s_mov_b64 exec, s[56:57]                           // sgprs -> exec
v_cmp_ne_u64 s[50:51], v[12:13], v[14:15]          // c read during atomic != c read during prior load
s_and_b64 s[56:57], s[50:51], s[56:57]             // inBounds & must try again
s_mov_b64 exec, s[58:59]                           // sgprs -> exec
v_cmp_ne_u64 s[50:51], v[24:25], v[26:27]          // c read during atomic != c read during prior load
	;; [unrolled: 3-line block ×3, first 2 shown]
s_and_b64 s[60:61], s[50:51], s[60:61]             // inBounds & must try again

/* or masks to check for exit */
s_mov_b64 s[50:51], 0x0                            // empty mask
s_or_b64 s[50:51], s[54:55], s[50:51]              // or to add threads
s_or_b64 s[50:51], s[56:57], s[50:51]              // or to add threads
	;; [unrolled: 1-line block ×4, first 2 shown]
s_or_saveexec_b64 s[52:53], s[50:51]               // apply combined mask
s_cbranch_execz label_0096                         // if exec is zero skip loop

/* atomic CAS loop */
label_0095:

/* apply updated masks and issue writes again */
s_mov_b64 exec, s[54:55]                           // must try again
v_mov_b32 v10, v8                                  // dataV+2 = tmp (new original C)
v_mov_b32 v11, v9                                  // dataV+3 = tmp (new original C)
v_add_f64 v[8:9], v[10:11], v[vgprValuC+16:vgprValuC+16+1] // newC = rC + originalC
_buffer_atomic_cmpswap_b64 v[8:11], v6, s[sgprSrdD:sgprSrdD+3] 0 offen offset:0 glc   // attempt write
s_mov_b64 exec, s[56:57]                           // must try again
v_mov_b32 v14, v12                                 // dataV+2 = tmp (new original C)
v_mov_b32 v15, v13                                 // dataV+3 = tmp (new original C)
v_add_f64 v[12:13], v[14:15], v[vgprValuC+18:vgprValuC+18+1] // newC = rC + originalC
_buffer_atomic_cmpswap_b64 v[12:15], v6, s[sgprSrdD:sgprSrdD+3] 0 offen offset:8 glc   // attempt write
s_mov_b64 exec, s[58:59]                           // must try again
v_mov_b32 v26, v24                                 // dataV+2 = tmp (new original C)
v_mov_b32 v27, v25                                 // dataV+3 = tmp (new original C)
	;; [unrolled: 5-line block ×3, first 2 shown]
v_add_f64 v[28:29], v[30:31], v[vgprValuC+22:vgprValuC+22+1] // newC = rC + originalC
_buffer_atomic_cmpswap_b64 v[28:31], v7, s[sgprSrdD:sgprSrdD+3] 0 offen offset:8 glc   // attempt write
s_waitcnt vmcnt(0)                                 // wait for atomic writes

/* apply masks and check for success */
s_mov_b64 exec, s[54:55]                           // must try again
v_cmp_ne_u64 s[50:51], v[8:9], v[10:11]            // c read during atomic != c read during prior load
s_and_b64 s[54:55], s[50:51], s[54:55]             // inBounds & must try again
s_mov_b64 exec, s[56:57]                           // must try again
v_cmp_ne_u64 s[50:51], v[12:13], v[14:15]          // c read during atomic != c read during prior load
s_and_b64 s[56:57], s[50:51], s[56:57]             // inBounds & must try again
s_mov_b64 exec, s[58:59]                           // must try again
v_cmp_ne_u64 s[50:51], v[24:25], v[26:27]          // c read during atomic != c read during prior load
s_and_b64 s[58:59], s[50:51], s[58:59]             // inBounds & must try again
s_mov_b64 exec, s[60:61]                           // must try again
v_cmp_ne_u64 s[50:51], v[28:29], v[30:31]          // c read during atomic != c read during prior load
s_and_b64 s[60:61], s[50:51], s[60:61]             // inBounds & must try again

/* or masks to check for exit */
s_mov_b64 s[50:51], 0x0                            // empty mask
s_or_b64 s[50:51], s[54:55], s[50:51]              // or to add threads
s_or_b64 s[50:51], s[56:57], s[50:51]              // or to add threads
	;; [unrolled: 1-line block ×4, first 2 shown]
s_or_saveexec_b64 s[52:53], s[50:51]               // apply combined mask
s_cbranch_execnz label_0095                        // try again if not complete
label_0096:
s_mov_b64 exec, -1                                 // full mask -> exec
s_nop 0                                            // 1 wait state required when next inst writes vgprs held by previous dwordx4 store inst
/* optSingleColVgpr=0 optSharedColVgpr=0 optSGPRUsage=None optSrdIncForRow=0 */
s_sleep 1 // optimization: sync and wait
s_barrier

/******************************************/
/* Global Write Alpha Edge Batch #1 (d1,d0,vc1,vc0) = */
/*    (1,0,0,0:vw2:vaw:1); (1,1,0,0:vw2:vaw:1) */
/******************************************/

/* calc coords, apply mask, and issue loads (if necessary) */
/* (d1,vc1,d0,vc0)=(1,0,0,0) */
_v_add_co_u32 v1, vcc, v1, 4                       // coord1.1: coord1Vgpr += d1*sg1*VW + vc1

/* Fix for UseInitialStridesCD, emitAddressSetupCode */
s_mul_i32 s50, s[sgprStrideC1J], 4                 // scale stride
_v_add_u32 v2, v2, s50                             // ROWINC- Move cinRowPtr to next row
s_mul_i32 s50, s[sgprStrideD1J], 4                 // scale stride
_v_add_u32 v3, v3, s50                             // Move coutRowPtr to next row
v_cmp_lt_u32 s[50:51], v0, s[sgprSizeI]            // coord0 < size0
v_cmp_lt_u32 s[54:55], v1, s[sgprSizeJ]            // coord1 < size1
s_and_b64 s[54:55], s[50:51], s[54:55]             // in0 && in1
_v_add_lshl_u32 v6, v3, v0, 0x3                    // scaleToBpe: accumulate d0 lower and *= bpe into Cin addr
v_cndmask_b32 v6, -1, v6, s[54:55]                 // LDD clip if OOB. offset
_buffer_load_b128 v[12:15], v6, s[sgprSrdD:sgprSrdD+3], 0, offen offset:0 // load D (atomic) bpm=16 vaw=1
/* (d1,vc1,d0,vc0)=(1,0,1,0) */
s_mov_b32 s50, 128                                 // coordOffset0 d0=1 vc0=0
_v_add_co_u32 v4, vcc, v0, s50                     // coord0.2: coord0 += d0*sg0*VW + vc0
v_cmp_lt_u32 s[50:51], v4, s[sgprSizeI]            // coord0 < size0
v_cmp_lt_u32 s[58:59], v1, s[sgprSizeJ]            // coord1 < size1
s_and_b64 s[58:59], s[50:51], s[58:59]             // in0 && in1
_v_add_lshl_u32 v7, v3, v4, 0x3                    // scaleToBpe: accumulate d0 lower and *= bpe into Cin addr
v_cndmask_b32 v7, -1, v7, s[58:59]                 // LDD clip if OOB. offset
_buffer_load_b128 v[28:31], v7, s[sgprSrdD:sgprSrdD+3], 0, offen offset:0 // load D (atomic) bpm=16 vaw=1
v_accvgpr_read_b32 v[vgprValuC+16], acc2 // copy acc to vreg[8]
v_accvgpr_read_b32 v[vgprValuC+17], acc3 // copy acc to vreg[9]
v_accvgpr_read_b32 v[vgprValuC+18], acc10 // copy acc to vreg[10]
v_accvgpr_read_b32 v[vgprValuC+19], acc11 // copy acc to vreg[11]
v_accvgpr_read_b32 v[vgprValuC+20], acc18 // copy acc to vreg[12]
v_accvgpr_read_b32 v[vgprValuC+21], acc19 // copy acc to vreg[13]
v_accvgpr_read_b32 v[vgprValuC+22], acc26 // copy acc to vreg[14]
v_accvgpr_read_b32 v[vgprValuC+23], acc27 // copy acc to vreg[15]
s_nop 1                                            // 2 wait states required before reading vgpr

/* rC *= alpha batchElements=[(1, 0, 0, 0), (1, 1, 0, 0)] */
v_mul_f64 v[vgprValuC+16:vgprValuC+16+1], s[sgprAlpha:sgprAlpha+1], v[vgprValuC+16:vgprValuC+16+1] // *= alpha
v_mul_f64 v[vgprValuC+18:vgprValuC+18+1], s[sgprAlpha:sgprAlpha+1], v[vgprValuC+18:vgprValuC+18+1] // *= alpha
	;; [unrolled: 1-line block ×4, first 2 shown]
s_waitcnt vmcnt(0)                                 // wait C (atomic)

/* issue first atomic writes */
s_mov_b64 exec, s[54:55]                           // sgprs -> exec (before atomic)
v_mov_b32 v10, v12                                 // v_mov for reordering loaded data
v_mov_b32 v11, v13                                 // v_mov for reordering loaded data
v_add_f64 v[8:9], v[10:11], v[vgprValuC+16:vgprValuC+16+1] // desired value
_buffer_atomic_cmpswap_b64 v[8:11], v6, s[sgprSrdD:sgprSrdD+3] 0 offen offset:0 glc   // attempt write
v_add_f64 v[12:13], v[14:15], v[vgprValuC+18:vgprValuC+18+1] // desired value
_buffer_atomic_cmpswap_b64 v[12:15], v6, s[sgprSrdD:sgprSrdD+3] 0 offen offset:8 glc   // attempt write
s_mov_b64 exec, s[58:59]                           // sgprs -> exec (before atomic)
v_mov_b32 v26, v28                                 // v_mov for reordering loaded data
v_mov_b32 v27, v29                                 // v_mov for reordering loaded data
v_add_f64 v[24:25], v[26:27], v[vgprValuC+20:vgprValuC+20+1] // desired value
_buffer_atomic_cmpswap_b64 v[24:27], v7, s[sgprSrdD:sgprSrdD+3] 0 offen offset:0 glc   // attempt write
v_add_f64 v[28:29], v[30:31], v[vgprValuC+22:vgprValuC+22+1] // desired value
_buffer_atomic_cmpswap_b64 v[28:31], v7, s[sgprSrdD:sgprSrdD+3] 0 offen offset:8 glc   // attempt write
s_mov_b64 s[56:57], s[54:55]                       // copy out of range mask from the first one
s_mov_b64 s[60:61], s[58:59]                       // copy out of range mask from the first one
s_waitcnt vmcnt(0)                                 // wait for atomic writes

/* check success of writes, update masks */
s_mov_b64 exec, s[54:55]                           // sgprs -> exec
v_cmp_ne_u64 s[50:51], v[8:9], v[10:11]            // c read during atomic != c read during prior load
s_and_b64 s[54:55], s[50:51], s[54:55]             // inBounds & must try again
s_mov_b64 exec, s[56:57]                           // sgprs -> exec
v_cmp_ne_u64 s[50:51], v[12:13], v[14:15]          // c read during atomic != c read during prior load
s_and_b64 s[56:57], s[50:51], s[56:57]             // inBounds & must try again
s_mov_b64 exec, s[58:59]                           // sgprs -> exec
v_cmp_ne_u64 s[50:51], v[24:25], v[26:27]          // c read during atomic != c read during prior load
	;; [unrolled: 3-line block ×3, first 2 shown]
s_and_b64 s[60:61], s[50:51], s[60:61]             // inBounds & must try again

/* or masks to check for exit */
s_mov_b64 s[50:51], 0x0                            // empty mask
s_or_b64 s[50:51], s[54:55], s[50:51]              // or to add threads
s_or_b64 s[50:51], s[56:57], s[50:51]              // or to add threads
	;; [unrolled: 1-line block ×4, first 2 shown]
s_or_saveexec_b64 s[52:53], s[50:51]               // apply combined mask
s_cbranch_execz label_0098                         // if exec is zero skip loop

/* atomic CAS loop */
label_0097:

/* apply updated masks and issue writes again */
s_mov_b64 exec, s[54:55]                           // must try again
v_mov_b32 v10, v8                                  // dataV+2 = tmp (new original C)
v_mov_b32 v11, v9                                  // dataV+3 = tmp (new original C)
v_add_f64 v[8:9], v[10:11], v[vgprValuC+16:vgprValuC+16+1] // newC = rC + originalC
_buffer_atomic_cmpswap_b64 v[8:11], v6, s[sgprSrdD:sgprSrdD+3] 0 offen offset:0 glc   // attempt write
s_mov_b64 exec, s[56:57]                           // must try again
v_mov_b32 v14, v12                                 // dataV+2 = tmp (new original C)
v_mov_b32 v15, v13                                 // dataV+3 = tmp (new original C)
v_add_f64 v[12:13], v[14:15], v[vgprValuC+18:vgprValuC+18+1] // newC = rC + originalC
_buffer_atomic_cmpswap_b64 v[12:15], v6, s[sgprSrdD:sgprSrdD+3] 0 offen offset:8 glc   // attempt write
s_mov_b64 exec, s[58:59]                           // must try again
v_mov_b32 v26, v24                                 // dataV+2 = tmp (new original C)
v_mov_b32 v27, v25                                 // dataV+3 = tmp (new original C)
	;; [unrolled: 5-line block ×3, first 2 shown]
v_add_f64 v[28:29], v[30:31], v[vgprValuC+22:vgprValuC+22+1] // newC = rC + originalC
_buffer_atomic_cmpswap_b64 v[28:31], v7, s[sgprSrdD:sgprSrdD+3] 0 offen offset:8 glc   // attempt write
s_waitcnt vmcnt(0)                                 // wait for atomic writes

/* apply masks and check for success */
s_mov_b64 exec, s[54:55]                           // must try again
v_cmp_ne_u64 s[50:51], v[8:9], v[10:11]            // c read during atomic != c read during prior load
s_and_b64 s[54:55], s[50:51], s[54:55]             // inBounds & must try again
s_mov_b64 exec, s[56:57]                           // must try again
v_cmp_ne_u64 s[50:51], v[12:13], v[14:15]          // c read during atomic != c read during prior load
s_and_b64 s[56:57], s[50:51], s[56:57]             // inBounds & must try again
s_mov_b64 exec, s[58:59]                           // must try again
v_cmp_ne_u64 s[50:51], v[24:25], v[26:27]          // c read during atomic != c read during prior load
s_and_b64 s[58:59], s[50:51], s[58:59]             // inBounds & must try again
s_mov_b64 exec, s[60:61]                           // must try again
v_cmp_ne_u64 s[50:51], v[28:29], v[30:31]          // c read during atomic != c read during prior load
s_and_b64 s[60:61], s[50:51], s[60:61]             // inBounds & must try again

/* or masks to check for exit */
s_mov_b64 s[50:51], 0x0                            // empty mask
s_or_b64 s[50:51], s[54:55], s[50:51]              // or to add threads
s_or_b64 s[50:51], s[56:57], s[50:51]              // or to add threads
	;; [unrolled: 1-line block ×4, first 2 shown]
s_or_saveexec_b64 s[52:53], s[50:51]               // apply combined mask
s_cbranch_execnz label_0097                        // try again if not complete
label_0098:
s_mov_b64 exec, -1                                 // full mask -> exec
s_nop 0                                            // 1 wait state required when next inst writes vgprs held by previous dwordx4 store inst
/* optSingleColVgpr=0 optSharedColVgpr=0 optSGPRUsage=None optSrdIncForRow=0 */
s_sleep 1 // optimization: sync and wait
s_barrier

/******************************************/
/* Global Write Alpha Edge Batch #2 (d1,d0,vc1,vc0) = */
/*    (2,0,0,0:vw2:vaw:1); (2,1,0,0:vw2:vaw:1) */
/******************************************/

/* calc coords, apply mask, and issue loads (if necessary) */
/* (d1,vc1,d0,vc0)=(2,0,0,0) */
_v_add_co_u32 v1, vcc, v1, 4                       // coord1.1: coord1Vgpr += d1*sg1*VW + vc1

/* Fix for UseInitialStridesCD, emitAddressSetupCode */
s_mul_i32 s50, s[sgprStrideC1J], 4                 // scale stride
_v_add_u32 v2, v2, s50                             // ROWINC- Move cinRowPtr to next row
s_mul_i32 s50, s[sgprStrideD1J], 4                 // scale stride
_v_add_u32 v3, v3, s50                             // Move coutRowPtr to next row
v_cmp_lt_u32 s[50:51], v0, s[sgprSizeI]            // coord0 < size0
v_cmp_lt_u32 s[54:55], v1, s[sgprSizeJ]            // coord1 < size1
s_and_b64 s[54:55], s[50:51], s[54:55]             // in0 && in1
_v_add_lshl_u32 v6, v3, v0, 0x3                    // scaleToBpe: accumulate d0 lower and *= bpe into Cin addr
v_cndmask_b32 v6, -1, v6, s[54:55]                 // LDD clip if OOB. offset
_buffer_load_b128 v[12:15], v6, s[sgprSrdD:sgprSrdD+3], 0, offen offset:0 // load D (atomic) bpm=16 vaw=1
/* (d1,vc1,d0,vc0)=(2,0,1,0) */
s_mov_b32 s50, 128                                 // coordOffset0 d0=1 vc0=0
_v_add_co_u32 v4, vcc, v0, s50                     // coord0.2: coord0 += d0*sg0*VW + vc0
v_cmp_lt_u32 s[50:51], v4, s[sgprSizeI]            // coord0 < size0
v_cmp_lt_u32 s[58:59], v1, s[sgprSizeJ]            // coord1 < size1
s_and_b64 s[58:59], s[50:51], s[58:59]             // in0 && in1
_v_add_lshl_u32 v7, v3, v4, 0x3                    // scaleToBpe: accumulate d0 lower and *= bpe into Cin addr
v_cndmask_b32 v7, -1, v7, s[58:59]                 // LDD clip if OOB. offset
_buffer_load_b128 v[28:31], v7, s[sgprSrdD:sgprSrdD+3], 0, offen offset:0 // load D (atomic) bpm=16 vaw=1
v_accvgpr_read_b32 v[vgprValuC+16], acc4 // copy acc to vreg[16]
v_accvgpr_read_b32 v[vgprValuC+17], acc5 // copy acc to vreg[17]
v_accvgpr_read_b32 v[vgprValuC+18], acc12 // copy acc to vreg[18]
v_accvgpr_read_b32 v[vgprValuC+19], acc13 // copy acc to vreg[19]
v_accvgpr_read_b32 v[vgprValuC+20], acc20 // copy acc to vreg[20]
v_accvgpr_read_b32 v[vgprValuC+21], acc21 // copy acc to vreg[21]
v_accvgpr_read_b32 v[vgprValuC+22], acc28 // copy acc to vreg[22]
v_accvgpr_read_b32 v[vgprValuC+23], acc29 // copy acc to vreg[23]
s_nop 1                                            // 2 wait states required before reading vgpr

/* rC *= alpha batchElements=[(2, 0, 0, 0), (2, 1, 0, 0)] */
v_mul_f64 v[vgprValuC+16:vgprValuC+16+1], s[sgprAlpha:sgprAlpha+1], v[vgprValuC+16:vgprValuC+16+1] // *= alpha
v_mul_f64 v[vgprValuC+18:vgprValuC+18+1], s[sgprAlpha:sgprAlpha+1], v[vgprValuC+18:vgprValuC+18+1] // *= alpha
	;; [unrolled: 1-line block ×4, first 2 shown]
s_waitcnt vmcnt(0)                                 // wait C (atomic)

/* issue first atomic writes */
s_mov_b64 exec, s[54:55]                           // sgprs -> exec (before atomic)
v_mov_b32 v10, v12                                 // v_mov for reordering loaded data
v_mov_b32 v11, v13                                 // v_mov for reordering loaded data
v_add_f64 v[8:9], v[10:11], v[vgprValuC+16:vgprValuC+16+1] // desired value
_buffer_atomic_cmpswap_b64 v[8:11], v6, s[sgprSrdD:sgprSrdD+3] 0 offen offset:0 glc   // attempt write
v_add_f64 v[12:13], v[14:15], v[vgprValuC+18:vgprValuC+18+1] // desired value
_buffer_atomic_cmpswap_b64 v[12:15], v6, s[sgprSrdD:sgprSrdD+3] 0 offen offset:8 glc   // attempt write
s_mov_b64 exec, s[58:59]                           // sgprs -> exec (before atomic)
v_mov_b32 v26, v28                                 // v_mov for reordering loaded data
v_mov_b32 v27, v29                                 // v_mov for reordering loaded data
v_add_f64 v[24:25], v[26:27], v[vgprValuC+20:vgprValuC+20+1] // desired value
_buffer_atomic_cmpswap_b64 v[24:27], v7, s[sgprSrdD:sgprSrdD+3] 0 offen offset:0 glc   // attempt write
v_add_f64 v[28:29], v[30:31], v[vgprValuC+22:vgprValuC+22+1] // desired value
_buffer_atomic_cmpswap_b64 v[28:31], v7, s[sgprSrdD:sgprSrdD+3] 0 offen offset:8 glc   // attempt write
s_mov_b64 s[56:57], s[54:55]                       // copy out of range mask from the first one
s_mov_b64 s[60:61], s[58:59]                       // copy out of range mask from the first one
s_waitcnt vmcnt(0)                                 // wait for atomic writes

/* check success of writes, update masks */
s_mov_b64 exec, s[54:55]                           // sgprs -> exec
v_cmp_ne_u64 s[50:51], v[8:9], v[10:11]            // c read during atomic != c read during prior load
s_and_b64 s[54:55], s[50:51], s[54:55]             // inBounds & must try again
s_mov_b64 exec, s[56:57]                           // sgprs -> exec
v_cmp_ne_u64 s[50:51], v[12:13], v[14:15]          // c read during atomic != c read during prior load
s_and_b64 s[56:57], s[50:51], s[56:57]             // inBounds & must try again
s_mov_b64 exec, s[58:59]                           // sgprs -> exec
v_cmp_ne_u64 s[50:51], v[24:25], v[26:27]          // c read during atomic != c read during prior load
	;; [unrolled: 3-line block ×3, first 2 shown]
s_and_b64 s[60:61], s[50:51], s[60:61]             // inBounds & must try again

/* or masks to check for exit */
s_mov_b64 s[50:51], 0x0                            // empty mask
s_or_b64 s[50:51], s[54:55], s[50:51]              // or to add threads
s_or_b64 s[50:51], s[56:57], s[50:51]              // or to add threads
	;; [unrolled: 1-line block ×4, first 2 shown]
s_or_saveexec_b64 s[52:53], s[50:51]               // apply combined mask
s_cbranch_execz label_0100                         // if exec is zero skip loop

/* atomic CAS loop */
label_0099:

/* apply updated masks and issue writes again */
s_mov_b64 exec, s[54:55]                           // must try again
v_mov_b32 v10, v8                                  // dataV+2 = tmp (new original C)
v_mov_b32 v11, v9                                  // dataV+3 = tmp (new original C)
v_add_f64 v[8:9], v[10:11], v[vgprValuC+16:vgprValuC+16+1] // newC = rC + originalC
_buffer_atomic_cmpswap_b64 v[8:11], v6, s[sgprSrdD:sgprSrdD+3] 0 offen offset:0 glc   // attempt write
s_mov_b64 exec, s[56:57]                           // must try again
v_mov_b32 v14, v12                                 // dataV+2 = tmp (new original C)
v_mov_b32 v15, v13                                 // dataV+3 = tmp (new original C)
v_add_f64 v[12:13], v[14:15], v[vgprValuC+18:vgprValuC+18+1] // newC = rC + originalC
_buffer_atomic_cmpswap_b64 v[12:15], v6, s[sgprSrdD:sgprSrdD+3] 0 offen offset:8 glc   // attempt write
s_mov_b64 exec, s[58:59]                           // must try again
v_mov_b32 v26, v24                                 // dataV+2 = tmp (new original C)
v_mov_b32 v27, v25                                 // dataV+3 = tmp (new original C)
v_add_f64 v[24:25], v[26:27], v[vgprValuC+20:vgprValuC+20+1] // newC = rC + originalC
_buffer_atomic_cmpswap_b64 v[24:27], v7, s[sgprSrdD:sgprSrdD+3] 0 offen offset:0 glc   // attempt write
s_mov_b64 exec, s[60:61]                           // must try again
v_mov_b32 v30, v28                                 // dataV+2 = tmp (new original C)
v_mov_b32 v31, v29                                 // dataV+3 = tmp (new original C)
v_add_f64 v[28:29], v[30:31], v[vgprValuC+22:vgprValuC+22+1] // newC = rC + originalC
_buffer_atomic_cmpswap_b64 v[28:31], v7, s[sgprSrdD:sgprSrdD+3] 0 offen offset:8 glc   // attempt write
s_waitcnt vmcnt(0)                                 // wait for atomic writes

/* apply masks and check for success */
s_mov_b64 exec, s[54:55]                           // must try again
v_cmp_ne_u64 s[50:51], v[8:9], v[10:11]            // c read during atomic != c read during prior load
s_and_b64 s[54:55], s[50:51], s[54:55]             // inBounds & must try again
s_mov_b64 exec, s[56:57]                           // must try again
v_cmp_ne_u64 s[50:51], v[12:13], v[14:15]          // c read during atomic != c read during prior load
s_and_b64 s[56:57], s[50:51], s[56:57]             // inBounds & must try again
s_mov_b64 exec, s[58:59]                           // must try again
v_cmp_ne_u64 s[50:51], v[24:25], v[26:27]          // c read during atomic != c read during prior load
	;; [unrolled: 3-line block ×3, first 2 shown]
s_and_b64 s[60:61], s[50:51], s[60:61]             // inBounds & must try again

/* or masks to check for exit */
s_mov_b64 s[50:51], 0x0                            // empty mask
s_or_b64 s[50:51], s[54:55], s[50:51]              // or to add threads
s_or_b64 s[50:51], s[56:57], s[50:51]              // or to add threads
	;; [unrolled: 1-line block ×4, first 2 shown]
s_or_saveexec_b64 s[52:53], s[50:51]               // apply combined mask
s_cbranch_execnz label_0099                        // try again if not complete
label_0100:
s_mov_b64 exec, -1                                 // full mask -> exec
s_nop 0                                            // 1 wait state required when next inst writes vgprs held by previous dwordx4 store inst
/* optSingleColVgpr=0 optSharedColVgpr=0 optSGPRUsage=None optSrdIncForRow=0 */
s_sleep 1 // optimization: sync and wait
s_barrier

/******************************************/
/* Global Write Alpha Edge Batch #3 (d1,d0,vc1,vc0) = */
/*    (3,0,0,0:vw2:vaw:1); (3,1,0,0:vw2:vaw:1) */
/******************************************/

/* calc coords, apply mask, and issue loads (if necessary) */
/* (d1,vc1,d0,vc0)=(3,0,0,0) */
_v_add_co_u32 v1, vcc, v1, 4                       // coord1.1: coord1Vgpr += d1*sg1*VW + vc1

/* Fix for UseInitialStridesCD, emitAddressSetupCode */
s_mul_i32 s50, s[sgprStrideC1J], 4                 // scale stride
_v_add_u32 v2, v2, s50                             // ROWINC- Move cinRowPtr to next row
s_mul_i32 s50, s[sgprStrideD1J], 4                 // scale stride
_v_add_u32 v3, v3, s50                             // Move coutRowPtr to next row
v_cmp_lt_u32 s[50:51], v0, s[sgprSizeI]            // coord0 < size0
v_cmp_lt_u32 s[54:55], v1, s[sgprSizeJ]            // coord1 < size1
s_and_b64 s[54:55], s[50:51], s[54:55]             // in0 && in1
_v_add_lshl_u32 v6, v3, v0, 0x3                    // scaleToBpe: accumulate d0 lower and *= bpe into Cin addr
v_cndmask_b32 v6, -1, v6, s[54:55]                 // LDD clip if OOB. offset
_buffer_load_b128 v[12:15], v6, s[sgprSrdD:sgprSrdD+3], 0, offen offset:0 // load D (atomic) bpm=16 vaw=1
/* (d1,vc1,d0,vc0)=(3,0,1,0) */
s_mov_b32 s50, 128                                 // coordOffset0 d0=1 vc0=0
_v_add_co_u32 v4, vcc, v0, s50                     // coord0.2: coord0 += d0*sg0*VW + vc0
v_cmp_lt_u32 s[50:51], v4, s[sgprSizeI]            // coord0 < size0
v_cmp_lt_u32 s[58:59], v1, s[sgprSizeJ]            // coord1 < size1
s_and_b64 s[58:59], s[50:51], s[58:59]             // in0 && in1
_v_add_lshl_u32 v7, v3, v4, 0x3                    // scaleToBpe: accumulate d0 lower and *= bpe into Cin addr
v_cndmask_b32 v7, -1, v7, s[58:59]                 // LDD clip if OOB. offset
_buffer_load_b128 v[28:31], v7, s[sgprSrdD:sgprSrdD+3], 0, offen offset:0 // load D (atomic) bpm=16 vaw=1
v_accvgpr_read_b32 v[vgprValuC+16], acc6 // copy acc to vreg[24]
v_accvgpr_read_b32 v[vgprValuC+17], acc7 // copy acc to vreg[25]
v_accvgpr_read_b32 v[vgprValuC+18], acc14 // copy acc to vreg[26]
v_accvgpr_read_b32 v[vgprValuC+19], acc15 // copy acc to vreg[27]
v_accvgpr_read_b32 v[vgprValuC+20], acc22 // copy acc to vreg[28]
v_accvgpr_read_b32 v[vgprValuC+21], acc23 // copy acc to vreg[29]
v_accvgpr_read_b32 v[vgprValuC+22], acc30 // copy acc to vreg[30]
v_accvgpr_read_b32 v[vgprValuC+23], acc31 // copy acc to vreg[31]
s_nop 1                                            // 2 wait states required before reading vgpr

/* rC *= alpha batchElements=[(3, 0, 0, 0), (3, 1, 0, 0)] */
v_mul_f64 v[vgprValuC+16:vgprValuC+16+1], s[sgprAlpha:sgprAlpha+1], v[vgprValuC+16:vgprValuC+16+1] // *= alpha
v_mul_f64 v[vgprValuC+18:vgprValuC+18+1], s[sgprAlpha:sgprAlpha+1], v[vgprValuC+18:vgprValuC+18+1] // *= alpha
	;; [unrolled: 1-line block ×4, first 2 shown]
s_waitcnt vmcnt(0)                                 // wait C (atomic)

/* issue first atomic writes */
s_mov_b64 exec, s[54:55]                           // sgprs -> exec (before atomic)
v_mov_b32 v10, v12                                 // v_mov for reordering loaded data
v_mov_b32 v11, v13                                 // v_mov for reordering loaded data
v_add_f64 v[8:9], v[10:11], v[vgprValuC+16:vgprValuC+16+1] // desired value
_buffer_atomic_cmpswap_b64 v[8:11], v6, s[sgprSrdD:sgprSrdD+3] 0 offen offset:0 glc   // attempt write
v_add_f64 v[12:13], v[14:15], v[vgprValuC+18:vgprValuC+18+1] // desired value
_buffer_atomic_cmpswap_b64 v[12:15], v6, s[sgprSrdD:sgprSrdD+3] 0 offen offset:8 glc   // attempt write
s_mov_b64 exec, s[58:59]                           // sgprs -> exec (before atomic)
v_mov_b32 v26, v28                                 // v_mov for reordering loaded data
v_mov_b32 v27, v29                                 // v_mov for reordering loaded data
v_add_f64 v[24:25], v[26:27], v[vgprValuC+20:vgprValuC+20+1] // desired value
_buffer_atomic_cmpswap_b64 v[24:27], v7, s[sgprSrdD:sgprSrdD+3] 0 offen offset:0 glc   // attempt write
v_add_f64 v[28:29], v[30:31], v[vgprValuC+22:vgprValuC+22+1] // desired value
_buffer_atomic_cmpswap_b64 v[28:31], v7, s[sgprSrdD:sgprSrdD+3] 0 offen offset:8 glc   // attempt write
s_mov_b64 s[56:57], s[54:55]                       // copy out of range mask from the first one
s_mov_b64 s[60:61], s[58:59]                       // copy out of range mask from the first one
s_waitcnt vmcnt(0)                                 // wait for atomic writes

/* check success of writes, update masks */
s_mov_b64 exec, s[54:55]                           // sgprs -> exec
v_cmp_ne_u64 s[50:51], v[8:9], v[10:11]            // c read during atomic != c read during prior load
s_and_b64 s[54:55], s[50:51], s[54:55]             // inBounds & must try again
s_mov_b64 exec, s[56:57]                           // sgprs -> exec
v_cmp_ne_u64 s[50:51], v[12:13], v[14:15]          // c read during atomic != c read during prior load
s_and_b64 s[56:57], s[50:51], s[56:57]             // inBounds & must try again
s_mov_b64 exec, s[58:59]                           // sgprs -> exec
v_cmp_ne_u64 s[50:51], v[24:25], v[26:27]          // c read during atomic != c read during prior load
	;; [unrolled: 3-line block ×3, first 2 shown]
s_and_b64 s[60:61], s[50:51], s[60:61]             // inBounds & must try again

/* or masks to check for exit */
s_mov_b64 s[50:51], 0x0                            // empty mask
s_or_b64 s[50:51], s[54:55], s[50:51]              // or to add threads
s_or_b64 s[50:51], s[56:57], s[50:51]              // or to add threads
	;; [unrolled: 1-line block ×4, first 2 shown]
s_or_saveexec_b64 s[52:53], s[50:51]               // apply combined mask
s_cbranch_execz label_0102                         // if exec is zero skip loop

/* atomic CAS loop */
label_0101:

/* apply updated masks and issue writes again */
s_mov_b64 exec, s[54:55]                           // must try again
v_mov_b32 v10, v8                                  // dataV+2 = tmp (new original C)
v_mov_b32 v11, v9                                  // dataV+3 = tmp (new original C)
v_add_f64 v[8:9], v[10:11], v[vgprValuC+16:vgprValuC+16+1] // newC = rC + originalC
_buffer_atomic_cmpswap_b64 v[8:11], v6, s[sgprSrdD:sgprSrdD+3] 0 offen offset:0 glc   // attempt write
s_mov_b64 exec, s[56:57]                           // must try again
v_mov_b32 v14, v12                                 // dataV+2 = tmp (new original C)
v_mov_b32 v15, v13                                 // dataV+3 = tmp (new original C)
v_add_f64 v[12:13], v[14:15], v[vgprValuC+18:vgprValuC+18+1] // newC = rC + originalC
_buffer_atomic_cmpswap_b64 v[12:15], v6, s[sgprSrdD:sgprSrdD+3] 0 offen offset:8 glc   // attempt write
s_mov_b64 exec, s[58:59]                           // must try again
v_mov_b32 v26, v24                                 // dataV+2 = tmp (new original C)
v_mov_b32 v27, v25                                 // dataV+3 = tmp (new original C)
	;; [unrolled: 5-line block ×3, first 2 shown]
v_add_f64 v[28:29], v[30:31], v[vgprValuC+22:vgprValuC+22+1] // newC = rC + originalC
_buffer_atomic_cmpswap_b64 v[28:31], v7, s[sgprSrdD:sgprSrdD+3] 0 offen offset:8 glc   // attempt write
s_waitcnt vmcnt(0)                                 // wait for atomic writes

/* apply masks and check for success */
s_mov_b64 exec, s[54:55]                           // must try again
v_cmp_ne_u64 s[50:51], v[8:9], v[10:11]            // c read during atomic != c read during prior load
s_and_b64 s[54:55], s[50:51], s[54:55]             // inBounds & must try again
s_mov_b64 exec, s[56:57]                           // must try again
v_cmp_ne_u64 s[50:51], v[12:13], v[14:15]          // c read during atomic != c read during prior load
s_and_b64 s[56:57], s[50:51], s[56:57]             // inBounds & must try again
s_mov_b64 exec, s[58:59]                           // must try again
v_cmp_ne_u64 s[50:51], v[24:25], v[26:27]          // c read during atomic != c read during prior load
	;; [unrolled: 3-line block ×3, first 2 shown]
s_and_b64 s[60:61], s[50:51], s[60:61]             // inBounds & must try again

/* or masks to check for exit */
s_mov_b64 s[50:51], 0x0                            // empty mask
s_or_b64 s[50:51], s[54:55], s[50:51]              // or to add threads
s_or_b64 s[50:51], s[56:57], s[50:51]              // or to add threads
	;; [unrolled: 1-line block ×4, first 2 shown]
s_or_saveexec_b64 s[52:53], s[50:51]               // apply combined mask
s_cbranch_execnz label_0101                        // try again if not complete
label_0102:
s_mov_b64 exec, -1                                 // full mask -> exec
s_nop 0                                            // 1 wait state required when next inst writes vgprs held by previous dwordx4 store inst
/* optSingleColVgpr=0 optSharedColVgpr=0 optSGPRUsage=None optSrdIncForRow=0 */
s_sleep 1 // optimization: sync and wait
s_barrier

/******************************************/
/* Global Write Alpha Edge Batch #4 (d1,d0,vc1,vc0) = */
/*    (4,0,0,0:vw2:vaw:1); (4,1,0,0:vw2:vaw:1) */
/******************************************/

/* calc coords, apply mask, and issue loads (if necessary) */
/* (d1,vc1,d0,vc0)=(4,0,0,0) */
_v_add_co_u32 v1, vcc, v1, 4                       // coord1.1: coord1Vgpr += d1*sg1*VW + vc1

/* Fix for UseInitialStridesCD, emitAddressSetupCode */
s_mul_i32 s50, s[sgprStrideC1J], 4                 // scale stride
_v_add_u32 v2, v2, s50                             // ROWINC- Move cinRowPtr to next row
s_mul_i32 s50, s[sgprStrideD1J], 4                 // scale stride
_v_add_u32 v3, v3, s50                             // Move coutRowPtr to next row
v_cmp_lt_u32 s[50:51], v0, s[sgprSizeI]            // coord0 < size0
v_cmp_lt_u32 s[54:55], v1, s[sgprSizeJ]            // coord1 < size1
s_and_b64 s[54:55], s[50:51], s[54:55]             // in0 && in1
_v_add_lshl_u32 v6, v3, v0, 0x3                    // scaleToBpe: accumulate d0 lower and *= bpe into Cin addr
v_cndmask_b32 v6, -1, v6, s[54:55]                 // LDD clip if OOB. offset
_buffer_load_b128 v[12:15], v6, s[sgprSrdD:sgprSrdD+3], 0, offen offset:0 // load D (atomic) bpm=16 vaw=1
/* (d1,vc1,d0,vc0)=(4,0,1,0) */
s_mov_b32 s50, 128                                 // coordOffset0 d0=1 vc0=0
_v_add_co_u32 v4, vcc, v0, s50                     // coord0.2: coord0 += d0*sg0*VW + vc0
v_cmp_lt_u32 s[50:51], v4, s[sgprSizeI]            // coord0 < size0
v_cmp_lt_u32 s[58:59], v1, s[sgprSizeJ]            // coord1 < size1
s_and_b64 s[58:59], s[50:51], s[58:59]             // in0 && in1
_v_add_lshl_u32 v7, v3, v4, 0x3                    // scaleToBpe: accumulate d0 lower and *= bpe into Cin addr
v_cndmask_b32 v7, -1, v7, s[58:59]                 // LDD clip if OOB. offset
_buffer_load_b128 v[28:31], v7, s[sgprSrdD:sgprSrdD+3], 0, offen offset:0 // load D (atomic) bpm=16 vaw=1
v_accvgpr_read_b32 v[vgprValuC+16], acc32 // copy acc to vreg[32]
v_accvgpr_read_b32 v[vgprValuC+17], acc33 // copy acc to vreg[33]
v_accvgpr_read_b32 v[vgprValuC+18], acc40 // copy acc to vreg[34]
v_accvgpr_read_b32 v[vgprValuC+19], acc41 // copy acc to vreg[35]
v_accvgpr_read_b32 v[vgprValuC+20], acc48 // copy acc to vreg[36]
v_accvgpr_read_b32 v[vgprValuC+21], acc49 // copy acc to vreg[37]
v_accvgpr_read_b32 v[vgprValuC+22], acc56 // copy acc to vreg[38]
v_accvgpr_read_b32 v[vgprValuC+23], acc57 // copy acc to vreg[39]
s_nop 1                                            // 2 wait states required before reading vgpr

/* rC *= alpha batchElements=[(4, 0, 0, 0), (4, 1, 0, 0)] */
v_mul_f64 v[vgprValuC+16:vgprValuC+16+1], s[sgprAlpha:sgprAlpha+1], v[vgprValuC+16:vgprValuC+16+1] // *= alpha
v_mul_f64 v[vgprValuC+18:vgprValuC+18+1], s[sgprAlpha:sgprAlpha+1], v[vgprValuC+18:vgprValuC+18+1] // *= alpha
	;; [unrolled: 1-line block ×4, first 2 shown]
s_waitcnt vmcnt(0)                                 // wait C (atomic)

/* issue first atomic writes */
s_mov_b64 exec, s[54:55]                           // sgprs -> exec (before atomic)
v_mov_b32 v10, v12                                 // v_mov for reordering loaded data
v_mov_b32 v11, v13                                 // v_mov for reordering loaded data
v_add_f64 v[8:9], v[10:11], v[vgprValuC+16:vgprValuC+16+1] // desired value
_buffer_atomic_cmpswap_b64 v[8:11], v6, s[sgprSrdD:sgprSrdD+3] 0 offen offset:0 glc   // attempt write
v_add_f64 v[12:13], v[14:15], v[vgprValuC+18:vgprValuC+18+1] // desired value
_buffer_atomic_cmpswap_b64 v[12:15], v6, s[sgprSrdD:sgprSrdD+3] 0 offen offset:8 glc   // attempt write
s_mov_b64 exec, s[58:59]                           // sgprs -> exec (before atomic)
v_mov_b32 v26, v28                                 // v_mov for reordering loaded data
v_mov_b32 v27, v29                                 // v_mov for reordering loaded data
v_add_f64 v[24:25], v[26:27], v[vgprValuC+20:vgprValuC+20+1] // desired value
_buffer_atomic_cmpswap_b64 v[24:27], v7, s[sgprSrdD:sgprSrdD+3] 0 offen offset:0 glc   // attempt write
v_add_f64 v[28:29], v[30:31], v[vgprValuC+22:vgprValuC+22+1] // desired value
_buffer_atomic_cmpswap_b64 v[28:31], v7, s[sgprSrdD:sgprSrdD+3] 0 offen offset:8 glc   // attempt write
s_mov_b64 s[56:57], s[54:55]                       // copy out of range mask from the first one
s_mov_b64 s[60:61], s[58:59]                       // copy out of range mask from the first one
s_waitcnt vmcnt(0)                                 // wait for atomic writes

/* check success of writes, update masks */
s_mov_b64 exec, s[54:55]                           // sgprs -> exec
v_cmp_ne_u64 s[50:51], v[8:9], v[10:11]            // c read during atomic != c read during prior load
s_and_b64 s[54:55], s[50:51], s[54:55]             // inBounds & must try again
s_mov_b64 exec, s[56:57]                           // sgprs -> exec
v_cmp_ne_u64 s[50:51], v[12:13], v[14:15]          // c read during atomic != c read during prior load
s_and_b64 s[56:57], s[50:51], s[56:57]             // inBounds & must try again
s_mov_b64 exec, s[58:59]                           // sgprs -> exec
v_cmp_ne_u64 s[50:51], v[24:25], v[26:27]          // c read during atomic != c read during prior load
	;; [unrolled: 3-line block ×3, first 2 shown]
s_and_b64 s[60:61], s[50:51], s[60:61]             // inBounds & must try again

/* or masks to check for exit */
s_mov_b64 s[50:51], 0x0                            // empty mask
s_or_b64 s[50:51], s[54:55], s[50:51]              // or to add threads
s_or_b64 s[50:51], s[56:57], s[50:51]              // or to add threads
	;; [unrolled: 1-line block ×4, first 2 shown]
s_or_saveexec_b64 s[52:53], s[50:51]               // apply combined mask
s_cbranch_execz label_0104                         // if exec is zero skip loop

/* atomic CAS loop */
label_0103:

/* apply updated masks and issue writes again */
s_mov_b64 exec, s[54:55]                           // must try again
v_mov_b32 v10, v8                                  // dataV+2 = tmp (new original C)
v_mov_b32 v11, v9                                  // dataV+3 = tmp (new original C)
v_add_f64 v[8:9], v[10:11], v[vgprValuC+16:vgprValuC+16+1] // newC = rC + originalC
_buffer_atomic_cmpswap_b64 v[8:11], v6, s[sgprSrdD:sgprSrdD+3] 0 offen offset:0 glc   // attempt write
s_mov_b64 exec, s[56:57]                           // must try again
v_mov_b32 v14, v12                                 // dataV+2 = tmp (new original C)
v_mov_b32 v15, v13                                 // dataV+3 = tmp (new original C)
v_add_f64 v[12:13], v[14:15], v[vgprValuC+18:vgprValuC+18+1] // newC = rC + originalC
_buffer_atomic_cmpswap_b64 v[12:15], v6, s[sgprSrdD:sgprSrdD+3] 0 offen offset:8 glc   // attempt write
s_mov_b64 exec, s[58:59]                           // must try again
v_mov_b32 v26, v24                                 // dataV+2 = tmp (new original C)
v_mov_b32 v27, v25                                 // dataV+3 = tmp (new original C)
	;; [unrolled: 5-line block ×3, first 2 shown]
v_add_f64 v[28:29], v[30:31], v[vgprValuC+22:vgprValuC+22+1] // newC = rC + originalC
_buffer_atomic_cmpswap_b64 v[28:31], v7, s[sgprSrdD:sgprSrdD+3] 0 offen offset:8 glc   // attempt write
s_waitcnt vmcnt(0)                                 // wait for atomic writes

/* apply masks and check for success */
s_mov_b64 exec, s[54:55]                           // must try again
v_cmp_ne_u64 s[50:51], v[8:9], v[10:11]            // c read during atomic != c read during prior load
s_and_b64 s[54:55], s[50:51], s[54:55]             // inBounds & must try again
s_mov_b64 exec, s[56:57]                           // must try again
v_cmp_ne_u64 s[50:51], v[12:13], v[14:15]          // c read during atomic != c read during prior load
s_and_b64 s[56:57], s[50:51], s[56:57]             // inBounds & must try again
s_mov_b64 exec, s[58:59]                           // must try again
v_cmp_ne_u64 s[50:51], v[24:25], v[26:27]          // c read during atomic != c read during prior load
	;; [unrolled: 3-line block ×3, first 2 shown]
s_and_b64 s[60:61], s[50:51], s[60:61]             // inBounds & must try again

/* or masks to check for exit */
s_mov_b64 s[50:51], 0x0                            // empty mask
s_or_b64 s[50:51], s[54:55], s[50:51]              // or to add threads
s_or_b64 s[50:51], s[56:57], s[50:51]              // or to add threads
	;; [unrolled: 1-line block ×4, first 2 shown]
s_or_saveexec_b64 s[52:53], s[50:51]               // apply combined mask
s_cbranch_execnz label_0103                        // try again if not complete
label_0104:
s_mov_b64 exec, -1                                 // full mask -> exec
s_nop 0                                            // 1 wait state required when next inst writes vgprs held by previous dwordx4 store inst
/* optSingleColVgpr=0 optSharedColVgpr=0 optSGPRUsage=None optSrdIncForRow=0 */
s_sleep 1 // optimization: sync and wait
s_barrier

/******************************************/
/* Global Write Alpha Edge Batch #5 (d1,d0,vc1,vc0) = */
/*    (5,0,0,0:vw2:vaw:1); (5,1,0,0:vw2:vaw:1) */
/******************************************/

/* calc coords, apply mask, and issue loads (if necessary) */
/* (d1,vc1,d0,vc0)=(5,0,0,0) */
_v_add_co_u32 v1, vcc, v1, 4                       // coord1.1: coord1Vgpr += d1*sg1*VW + vc1

/* Fix for UseInitialStridesCD, emitAddressSetupCode */
s_mul_i32 s50, s[sgprStrideC1J], 4                 // scale stride
_v_add_u32 v2, v2, s50                             // ROWINC- Move cinRowPtr to next row
s_mul_i32 s50, s[sgprStrideD1J], 4                 // scale stride
_v_add_u32 v3, v3, s50                             // Move coutRowPtr to next row
v_cmp_lt_u32 s[50:51], v0, s[sgprSizeI]            // coord0 < size0
v_cmp_lt_u32 s[54:55], v1, s[sgprSizeJ]            // coord1 < size1
s_and_b64 s[54:55], s[50:51], s[54:55]             // in0 && in1
_v_add_lshl_u32 v6, v3, v0, 0x3                    // scaleToBpe: accumulate d0 lower and *= bpe into Cin addr
v_cndmask_b32 v6, -1, v6, s[54:55]                 // LDD clip if OOB. offset
_buffer_load_b128 v[12:15], v6, s[sgprSrdD:sgprSrdD+3], 0, offen offset:0 // load D (atomic) bpm=16 vaw=1
/* (d1,vc1,d0,vc0)=(5,0,1,0) */
s_mov_b32 s50, 128                                 // coordOffset0 d0=1 vc0=0
_v_add_co_u32 v4, vcc, v0, s50                     // coord0.2: coord0 += d0*sg0*VW + vc0
v_cmp_lt_u32 s[50:51], v4, s[sgprSizeI]            // coord0 < size0
v_cmp_lt_u32 s[58:59], v1, s[sgprSizeJ]            // coord1 < size1
s_and_b64 s[58:59], s[50:51], s[58:59]             // in0 && in1
_v_add_lshl_u32 v7, v3, v4, 0x3                    // scaleToBpe: accumulate d0 lower and *= bpe into Cin addr
v_cndmask_b32 v7, -1, v7, s[58:59]                 // LDD clip if OOB. offset
_buffer_load_b128 v[28:31], v7, s[sgprSrdD:sgprSrdD+3], 0, offen offset:0 // load D (atomic) bpm=16 vaw=1
v_accvgpr_read_b32 v[vgprValuC+16], acc34 // copy acc to vreg[40]
v_accvgpr_read_b32 v[vgprValuC+17], acc35 // copy acc to vreg[41]
v_accvgpr_read_b32 v[vgprValuC+18], acc42 // copy acc to vreg[42]
v_accvgpr_read_b32 v[vgprValuC+19], acc43 // copy acc to vreg[43]
v_accvgpr_read_b32 v[vgprValuC+20], acc50 // copy acc to vreg[44]
v_accvgpr_read_b32 v[vgprValuC+21], acc51 // copy acc to vreg[45]
v_accvgpr_read_b32 v[vgprValuC+22], acc58 // copy acc to vreg[46]
v_accvgpr_read_b32 v[vgprValuC+23], acc59 // copy acc to vreg[47]
s_nop 1                                            // 2 wait states required before reading vgpr

/* rC *= alpha batchElements=[(5, 0, 0, 0), (5, 1, 0, 0)] */
v_mul_f64 v[vgprValuC+16:vgprValuC+16+1], s[sgprAlpha:sgprAlpha+1], v[vgprValuC+16:vgprValuC+16+1] // *= alpha
v_mul_f64 v[vgprValuC+18:vgprValuC+18+1], s[sgprAlpha:sgprAlpha+1], v[vgprValuC+18:vgprValuC+18+1] // *= alpha
	;; [unrolled: 1-line block ×4, first 2 shown]
s_waitcnt vmcnt(0)                                 // wait C (atomic)

/* issue first atomic writes */
s_mov_b64 exec, s[54:55]                           // sgprs -> exec (before atomic)
v_mov_b32 v10, v12                                 // v_mov for reordering loaded data
v_mov_b32 v11, v13                                 // v_mov for reordering loaded data
v_add_f64 v[8:9], v[10:11], v[vgprValuC+16:vgprValuC+16+1] // desired value
_buffer_atomic_cmpswap_b64 v[8:11], v6, s[sgprSrdD:sgprSrdD+3] 0 offen offset:0 glc   // attempt write
v_add_f64 v[12:13], v[14:15], v[vgprValuC+18:vgprValuC+18+1] // desired value
_buffer_atomic_cmpswap_b64 v[12:15], v6, s[sgprSrdD:sgprSrdD+3] 0 offen offset:8 glc   // attempt write
s_mov_b64 exec, s[58:59]                           // sgprs -> exec (before atomic)
v_mov_b32 v26, v28                                 // v_mov for reordering loaded data
v_mov_b32 v27, v29                                 // v_mov for reordering loaded data
v_add_f64 v[24:25], v[26:27], v[vgprValuC+20:vgprValuC+20+1] // desired value
_buffer_atomic_cmpswap_b64 v[24:27], v7, s[sgprSrdD:sgprSrdD+3] 0 offen offset:0 glc   // attempt write
v_add_f64 v[28:29], v[30:31], v[vgprValuC+22:vgprValuC+22+1] // desired value
_buffer_atomic_cmpswap_b64 v[28:31], v7, s[sgprSrdD:sgprSrdD+3] 0 offen offset:8 glc   // attempt write
s_mov_b64 s[56:57], s[54:55]                       // copy out of range mask from the first one
s_mov_b64 s[60:61], s[58:59]                       // copy out of range mask from the first one
s_waitcnt vmcnt(0)                                 // wait for atomic writes

/* check success of writes, update masks */
s_mov_b64 exec, s[54:55]                           // sgprs -> exec
v_cmp_ne_u64 s[50:51], v[8:9], v[10:11]            // c read during atomic != c read during prior load
s_and_b64 s[54:55], s[50:51], s[54:55]             // inBounds & must try again
s_mov_b64 exec, s[56:57]                           // sgprs -> exec
v_cmp_ne_u64 s[50:51], v[12:13], v[14:15]          // c read during atomic != c read during prior load
s_and_b64 s[56:57], s[50:51], s[56:57]             // inBounds & must try again
s_mov_b64 exec, s[58:59]                           // sgprs -> exec
v_cmp_ne_u64 s[50:51], v[24:25], v[26:27]          // c read during atomic != c read during prior load
	;; [unrolled: 3-line block ×3, first 2 shown]
s_and_b64 s[60:61], s[50:51], s[60:61]             // inBounds & must try again

/* or masks to check for exit */
s_mov_b64 s[50:51], 0x0                            // empty mask
s_or_b64 s[50:51], s[54:55], s[50:51]              // or to add threads
s_or_b64 s[50:51], s[56:57], s[50:51]              // or to add threads
	;; [unrolled: 1-line block ×4, first 2 shown]
s_or_saveexec_b64 s[52:53], s[50:51]               // apply combined mask
s_cbranch_execz label_0106                         // if exec is zero skip loop

/* atomic CAS loop */
label_0105:

/* apply updated masks and issue writes again */
s_mov_b64 exec, s[54:55]                           // must try again
v_mov_b32 v10, v8                                  // dataV+2 = tmp (new original C)
v_mov_b32 v11, v9                                  // dataV+3 = tmp (new original C)
v_add_f64 v[8:9], v[10:11], v[vgprValuC+16:vgprValuC+16+1] // newC = rC + originalC
_buffer_atomic_cmpswap_b64 v[8:11], v6, s[sgprSrdD:sgprSrdD+3] 0 offen offset:0 glc   // attempt write
s_mov_b64 exec, s[56:57]                           // must try again
v_mov_b32 v14, v12                                 // dataV+2 = tmp (new original C)
v_mov_b32 v15, v13                                 // dataV+3 = tmp (new original C)
v_add_f64 v[12:13], v[14:15], v[vgprValuC+18:vgprValuC+18+1] // newC = rC + originalC
_buffer_atomic_cmpswap_b64 v[12:15], v6, s[sgprSrdD:sgprSrdD+3] 0 offen offset:8 glc   // attempt write
s_mov_b64 exec, s[58:59]                           // must try again
v_mov_b32 v26, v24                                 // dataV+2 = tmp (new original C)
v_mov_b32 v27, v25                                 // dataV+3 = tmp (new original C)
	;; [unrolled: 5-line block ×3, first 2 shown]
v_add_f64 v[28:29], v[30:31], v[vgprValuC+22:vgprValuC+22+1] // newC = rC + originalC
_buffer_atomic_cmpswap_b64 v[28:31], v7, s[sgprSrdD:sgprSrdD+3] 0 offen offset:8 glc   // attempt write
s_waitcnt vmcnt(0)                                 // wait for atomic writes

/* apply masks and check for success */
s_mov_b64 exec, s[54:55]                           // must try again
v_cmp_ne_u64 s[50:51], v[8:9], v[10:11]            // c read during atomic != c read during prior load
s_and_b64 s[54:55], s[50:51], s[54:55]             // inBounds & must try again
s_mov_b64 exec, s[56:57]                           // must try again
v_cmp_ne_u64 s[50:51], v[12:13], v[14:15]          // c read during atomic != c read during prior load
s_and_b64 s[56:57], s[50:51], s[56:57]             // inBounds & must try again
s_mov_b64 exec, s[58:59]                           // must try again
v_cmp_ne_u64 s[50:51], v[24:25], v[26:27]          // c read during atomic != c read during prior load
s_and_b64 s[58:59], s[50:51], s[58:59]             // inBounds & must try again
s_mov_b64 exec, s[60:61]                           // must try again
v_cmp_ne_u64 s[50:51], v[28:29], v[30:31]          // c read during atomic != c read during prior load
s_and_b64 s[60:61], s[50:51], s[60:61]             // inBounds & must try again

/* or masks to check for exit */
s_mov_b64 s[50:51], 0x0                            // empty mask
s_or_b64 s[50:51], s[54:55], s[50:51]              // or to add threads
s_or_b64 s[50:51], s[56:57], s[50:51]              // or to add threads
s_or_b64 s[50:51], s[58:59], s[50:51]              // or to add threads
s_or_b64 s[50:51], s[60:61], s[50:51]              // or to add threads
s_or_saveexec_b64 s[52:53], s[50:51]               // apply combined mask
s_cbranch_execnz label_0105                        // try again if not complete
label_0106:
s_mov_b64 exec, -1                                 // full mask -> exec
s_nop 0                                            // 1 wait state required when next inst writes vgprs held by previous dwordx4 store inst
/* optSingleColVgpr=0 optSharedColVgpr=0 optSGPRUsage=None optSrdIncForRow=0 */
s_sleep 1 // optimization: sync and wait
s_barrier

/******************************************/
/* Global Write Alpha Edge Batch #6 (d1,d0,vc1,vc0) = */
/*    (6,0,0,0:vw2:vaw:1); (6,1,0,0:vw2:vaw:1) */
/******************************************/

/* calc coords, apply mask, and issue loads (if necessary) */
/* (d1,vc1,d0,vc0)=(6,0,0,0) */
_v_add_co_u32 v1, vcc, v1, 4                       // coord1.1: coord1Vgpr += d1*sg1*VW + vc1

/* Fix for UseInitialStridesCD, emitAddressSetupCode */
s_mul_i32 s50, s[sgprStrideC1J], 4                 // scale stride
_v_add_u32 v2, v2, s50                             // ROWINC- Move cinRowPtr to next row
s_mul_i32 s50, s[sgprStrideD1J], 4                 // scale stride
_v_add_u32 v3, v3, s50                             // Move coutRowPtr to next row
v_cmp_lt_u32 s[50:51], v0, s[sgprSizeI]            // coord0 < size0
v_cmp_lt_u32 s[54:55], v1, s[sgprSizeJ]            // coord1 < size1
s_and_b64 s[54:55], s[50:51], s[54:55]             // in0 && in1
_v_add_lshl_u32 v6, v3, v0, 0x3                    // scaleToBpe: accumulate d0 lower and *= bpe into Cin addr
v_cndmask_b32 v6, -1, v6, s[54:55]                 // LDD clip if OOB. offset
_buffer_load_b128 v[12:15], v6, s[sgprSrdD:sgprSrdD+3], 0, offen offset:0 // load D (atomic) bpm=16 vaw=1
/* (d1,vc1,d0,vc0)=(6,0,1,0) */
s_mov_b32 s50, 128                                 // coordOffset0 d0=1 vc0=0
_v_add_co_u32 v4, vcc, v0, s50                     // coord0.2: coord0 += d0*sg0*VW + vc0
v_cmp_lt_u32 s[50:51], v4, s[sgprSizeI]            // coord0 < size0
v_cmp_lt_u32 s[58:59], v1, s[sgprSizeJ]            // coord1 < size1
s_and_b64 s[58:59], s[50:51], s[58:59]             // in0 && in1
_v_add_lshl_u32 v7, v3, v4, 0x3                    // scaleToBpe: accumulate d0 lower and *= bpe into Cin addr
v_cndmask_b32 v7, -1, v7, s[58:59]                 // LDD clip if OOB. offset
_buffer_load_b128 v[28:31], v7, s[sgprSrdD:sgprSrdD+3], 0, offen offset:0 // load D (atomic) bpm=16 vaw=1
v_accvgpr_read_b32 v[vgprValuC+16], acc36 // copy acc to vreg[48]
v_accvgpr_read_b32 v[vgprValuC+17], acc37 // copy acc to vreg[49]
v_accvgpr_read_b32 v[vgprValuC+18], acc44 // copy acc to vreg[50]
v_accvgpr_read_b32 v[vgprValuC+19], acc45 // copy acc to vreg[51]
v_accvgpr_read_b32 v[vgprValuC+20], acc52 // copy acc to vreg[52]
v_accvgpr_read_b32 v[vgprValuC+21], acc53 // copy acc to vreg[53]
v_accvgpr_read_b32 v[vgprValuC+22], acc60 // copy acc to vreg[54]
v_accvgpr_read_b32 v[vgprValuC+23], acc61 // copy acc to vreg[55]
s_nop 1                                            // 2 wait states required before reading vgpr

/* rC *= alpha batchElements=[(6, 0, 0, 0), (6, 1, 0, 0)] */
v_mul_f64 v[vgprValuC+16:vgprValuC+16+1], s[sgprAlpha:sgprAlpha+1], v[vgprValuC+16:vgprValuC+16+1] // *= alpha
v_mul_f64 v[vgprValuC+18:vgprValuC+18+1], s[sgprAlpha:sgprAlpha+1], v[vgprValuC+18:vgprValuC+18+1] // *= alpha
	;; [unrolled: 1-line block ×4, first 2 shown]
s_waitcnt vmcnt(0)                                 // wait C (atomic)

/* issue first atomic writes */
s_mov_b64 exec, s[54:55]                           // sgprs -> exec (before atomic)
v_mov_b32 v10, v12                                 // v_mov for reordering loaded data
v_mov_b32 v11, v13                                 // v_mov for reordering loaded data
v_add_f64 v[8:9], v[10:11], v[vgprValuC+16:vgprValuC+16+1] // desired value
_buffer_atomic_cmpswap_b64 v[8:11], v6, s[sgprSrdD:sgprSrdD+3] 0 offen offset:0 glc   // attempt write
v_add_f64 v[12:13], v[14:15], v[vgprValuC+18:vgprValuC+18+1] // desired value
_buffer_atomic_cmpswap_b64 v[12:15], v6, s[sgprSrdD:sgprSrdD+3] 0 offen offset:8 glc   // attempt write
s_mov_b64 exec, s[58:59]                           // sgprs -> exec (before atomic)
v_mov_b32 v26, v28                                 // v_mov for reordering loaded data
v_mov_b32 v27, v29                                 // v_mov for reordering loaded data
v_add_f64 v[24:25], v[26:27], v[vgprValuC+20:vgprValuC+20+1] // desired value
_buffer_atomic_cmpswap_b64 v[24:27], v7, s[sgprSrdD:sgprSrdD+3] 0 offen offset:0 glc   // attempt write
v_add_f64 v[28:29], v[30:31], v[vgprValuC+22:vgprValuC+22+1] // desired value
_buffer_atomic_cmpswap_b64 v[28:31], v7, s[sgprSrdD:sgprSrdD+3] 0 offen offset:8 glc   // attempt write
s_mov_b64 s[56:57], s[54:55]                       // copy out of range mask from the first one
s_mov_b64 s[60:61], s[58:59]                       // copy out of range mask from the first one
s_waitcnt vmcnt(0)                                 // wait for atomic writes

/* check success of writes, update masks */
s_mov_b64 exec, s[54:55]                           // sgprs -> exec
v_cmp_ne_u64 s[50:51], v[8:9], v[10:11]            // c read during atomic != c read during prior load
s_and_b64 s[54:55], s[50:51], s[54:55]             // inBounds & must try again
s_mov_b64 exec, s[56:57]                           // sgprs -> exec
v_cmp_ne_u64 s[50:51], v[12:13], v[14:15]          // c read during atomic != c read during prior load
s_and_b64 s[56:57], s[50:51], s[56:57]             // inBounds & must try again
s_mov_b64 exec, s[58:59]                           // sgprs -> exec
v_cmp_ne_u64 s[50:51], v[24:25], v[26:27]          // c read during atomic != c read during prior load
s_and_b64 s[58:59], s[50:51], s[58:59]             // inBounds & must try again
s_mov_b64 exec, s[60:61]                           // sgprs -> exec
v_cmp_ne_u64 s[50:51], v[28:29], v[30:31]          // c read during atomic != c read during prior load
s_and_b64 s[60:61], s[50:51], s[60:61]             // inBounds & must try again

/* or masks to check for exit */
s_mov_b64 s[50:51], 0x0                            // empty mask
s_or_b64 s[50:51], s[54:55], s[50:51]              // or to add threads
s_or_b64 s[50:51], s[56:57], s[50:51]              // or to add threads
s_or_b64 s[50:51], s[58:59], s[50:51]              // or to add threads
s_or_b64 s[50:51], s[60:61], s[50:51]              // or to add threads
s_or_saveexec_b64 s[52:53], s[50:51]               // apply combined mask
s_cbranch_execz label_0108                         // if exec is zero skip loop

/* atomic CAS loop */
label_0107:

/* apply updated masks and issue writes again */
s_mov_b64 exec, s[54:55]                           // must try again
v_mov_b32 v10, v8                                  // dataV+2 = tmp (new original C)
v_mov_b32 v11, v9                                  // dataV+3 = tmp (new original C)
v_add_f64 v[8:9], v[10:11], v[vgprValuC+16:vgprValuC+16+1] // newC = rC + originalC
_buffer_atomic_cmpswap_b64 v[8:11], v6, s[sgprSrdD:sgprSrdD+3] 0 offen offset:0 glc   // attempt write
s_mov_b64 exec, s[56:57]                           // must try again
v_mov_b32 v14, v12                                 // dataV+2 = tmp (new original C)
v_mov_b32 v15, v13                                 // dataV+3 = tmp (new original C)
v_add_f64 v[12:13], v[14:15], v[vgprValuC+18:vgprValuC+18+1] // newC = rC + originalC
_buffer_atomic_cmpswap_b64 v[12:15], v6, s[sgprSrdD:sgprSrdD+3] 0 offen offset:8 glc   // attempt write
s_mov_b64 exec, s[58:59]                           // must try again
v_mov_b32 v26, v24                                 // dataV+2 = tmp (new original C)
v_mov_b32 v27, v25                                 // dataV+3 = tmp (new original C)
	;; [unrolled: 5-line block ×3, first 2 shown]
v_add_f64 v[28:29], v[30:31], v[vgprValuC+22:vgprValuC+22+1] // newC = rC + originalC
_buffer_atomic_cmpswap_b64 v[28:31], v7, s[sgprSrdD:sgprSrdD+3] 0 offen offset:8 glc   // attempt write
s_waitcnt vmcnt(0)                                 // wait for atomic writes

/* apply masks and check for success */
s_mov_b64 exec, s[54:55]                           // must try again
v_cmp_ne_u64 s[50:51], v[8:9], v[10:11]            // c read during atomic != c read during prior load
s_and_b64 s[54:55], s[50:51], s[54:55]             // inBounds & must try again
s_mov_b64 exec, s[56:57]                           // must try again
v_cmp_ne_u64 s[50:51], v[12:13], v[14:15]          // c read during atomic != c read during prior load
s_and_b64 s[56:57], s[50:51], s[56:57]             // inBounds & must try again
s_mov_b64 exec, s[58:59]                           // must try again
v_cmp_ne_u64 s[50:51], v[24:25], v[26:27]          // c read during atomic != c read during prior load
	;; [unrolled: 3-line block ×3, first 2 shown]
s_and_b64 s[60:61], s[50:51], s[60:61]             // inBounds & must try again

/* or masks to check for exit */
s_mov_b64 s[50:51], 0x0                            // empty mask
s_or_b64 s[50:51], s[54:55], s[50:51]              // or to add threads
s_or_b64 s[50:51], s[56:57], s[50:51]              // or to add threads
	;; [unrolled: 1-line block ×4, first 2 shown]
s_or_saveexec_b64 s[52:53], s[50:51]               // apply combined mask
s_cbranch_execnz label_0107                        // try again if not complete
label_0108:
s_mov_b64 exec, -1                                 // full mask -> exec
s_nop 0                                            // 1 wait state required when next inst writes vgprs held by previous dwordx4 store inst
/* optSingleColVgpr=0 optSharedColVgpr=0 optSGPRUsage=None optSrdIncForRow=0 */
s_sleep 1 // optimization: sync and wait
s_barrier

/******************************************/
/* Global Write Alpha Edge Batch #7 (d1,d0,vc1,vc0) = */
/*    (7,0,0,0:vw2:vaw:1); (7,1,0,0:vw2:vaw:1) */
/******************************************/

/* calc coords, apply mask, and issue loads (if necessary) */
/* (d1,vc1,d0,vc0)=(7,0,0,0) */
_v_add_co_u32 v1, vcc, v1, 4                       // coord1.1: coord1Vgpr += d1*sg1*VW + vc1

/* Fix for UseInitialStridesCD, emitAddressSetupCode */
s_mul_i32 s50, s[sgprStrideC1J], 4                 // scale stride
_v_add_u32 v2, v2, s50                             // ROWINC- Move cinRowPtr to next row
s_mul_i32 s50, s[sgprStrideD1J], 4                 // scale stride
_v_add_u32 v3, v3, s50                             // Move coutRowPtr to next row
v_cmp_lt_u32 s[50:51], v0, s[sgprSizeI]            // coord0 < size0
v_cmp_lt_u32 s[54:55], v1, s[sgprSizeJ]            // coord1 < size1
s_and_b64 s[54:55], s[50:51], s[54:55]             // in0 && in1
_v_add_lshl_u32 v6, v3, v0, 0x3                    // scaleToBpe: accumulate d0 lower and *= bpe into Cin addr
v_cndmask_b32 v6, -1, v6, s[54:55]                 // LDD clip if OOB. offset
_buffer_load_b128 v[12:15], v6, s[sgprSrdD:sgprSrdD+3], 0, offen offset:0 // load D (atomic) bpm=16 vaw=1
/* (d1,vc1,d0,vc0)=(7,0,1,0) */
s_mov_b32 s50, 128                                 // coordOffset0 d0=1 vc0=0
_v_add_co_u32 v4, vcc, v0, s50                     // coord0.2: coord0 += d0*sg0*VW + vc0
v_cmp_lt_u32 s[50:51], v4, s[sgprSizeI]            // coord0 < size0
v_cmp_lt_u32 s[58:59], v1, s[sgprSizeJ]            // coord1 < size1
s_and_b64 s[58:59], s[50:51], s[58:59]             // in0 && in1
_v_add_lshl_u32 v7, v3, v4, 0x3                    // scaleToBpe: accumulate d0 lower and *= bpe into Cin addr
v_cndmask_b32 v7, -1, v7, s[58:59]                 // LDD clip if OOB. offset
_buffer_load_b128 v[28:31], v7, s[sgprSrdD:sgprSrdD+3], 0, offen offset:0 // load D (atomic) bpm=16 vaw=1
v_accvgpr_read_b32 v[vgprValuC+16], acc38 // copy acc to vreg[56]
v_accvgpr_read_b32 v[vgprValuC+17], acc39 // copy acc to vreg[57]
v_accvgpr_read_b32 v[vgprValuC+18], acc46 // copy acc to vreg[58]
v_accvgpr_read_b32 v[vgprValuC+19], acc47 // copy acc to vreg[59]
v_accvgpr_read_b32 v[vgprValuC+20], acc54 // copy acc to vreg[60]
v_accvgpr_read_b32 v[vgprValuC+21], acc55 // copy acc to vreg[61]
v_accvgpr_read_b32 v[vgprValuC+22], acc62 // copy acc to vreg[62]
v_accvgpr_read_b32 v[vgprValuC+23], acc63 // copy acc to vreg[63]
s_nop 1                                            // 2 wait states required before reading vgpr

/* rC *= alpha batchElements=[(7, 0, 0, 0), (7, 1, 0, 0)] */
v_mul_f64 v[vgprValuC+16:vgprValuC+16+1], s[sgprAlpha:sgprAlpha+1], v[vgprValuC+16:vgprValuC+16+1] // *= alpha
v_mul_f64 v[vgprValuC+18:vgprValuC+18+1], s[sgprAlpha:sgprAlpha+1], v[vgprValuC+18:vgprValuC+18+1] // *= alpha
	;; [unrolled: 1-line block ×4, first 2 shown]
s_waitcnt vmcnt(0)                                 // wait C (atomic)

/* issue first atomic writes */
s_mov_b64 exec, s[54:55]                           // sgprs -> exec (before atomic)
v_mov_b32 v10, v12                                 // v_mov for reordering loaded data
v_mov_b32 v11, v13                                 // v_mov for reordering loaded data
v_add_f64 v[8:9], v[10:11], v[vgprValuC+16:vgprValuC+16+1] // desired value
_buffer_atomic_cmpswap_b64 v[8:11], v6, s[sgprSrdD:sgprSrdD+3] 0 offen offset:0 glc   // attempt write
v_add_f64 v[12:13], v[14:15], v[vgprValuC+18:vgprValuC+18+1] // desired value
_buffer_atomic_cmpswap_b64 v[12:15], v6, s[sgprSrdD:sgprSrdD+3] 0 offen offset:8 glc   // attempt write
s_mov_b64 exec, s[58:59]                           // sgprs -> exec (before atomic)
v_mov_b32 v26, v28                                 // v_mov for reordering loaded data
v_mov_b32 v27, v29                                 // v_mov for reordering loaded data
v_add_f64 v[24:25], v[26:27], v[vgprValuC+20:vgprValuC+20+1] // desired value
_buffer_atomic_cmpswap_b64 v[24:27], v7, s[sgprSrdD:sgprSrdD+3] 0 offen offset:0 glc   // attempt write
v_add_f64 v[28:29], v[30:31], v[vgprValuC+22:vgprValuC+22+1] // desired value
_buffer_atomic_cmpswap_b64 v[28:31], v7, s[sgprSrdD:sgprSrdD+3] 0 offen offset:8 glc   // attempt write
s_mov_b64 s[56:57], s[54:55]                       // copy out of range mask from the first one
s_mov_b64 s[60:61], s[58:59]                       // copy out of range mask from the first one
s_waitcnt vmcnt(0)                                 // wait for atomic writes

/* check success of writes, update masks */
s_mov_b64 exec, s[54:55]                           // sgprs -> exec
v_cmp_ne_u64 s[50:51], v[8:9], v[10:11]            // c read during atomic != c read during prior load
s_and_b64 s[54:55], s[50:51], s[54:55]             // inBounds & must try again
s_mov_b64 exec, s[56:57]                           // sgprs -> exec
v_cmp_ne_u64 s[50:51], v[12:13], v[14:15]          // c read during atomic != c read during prior load
s_and_b64 s[56:57], s[50:51], s[56:57]             // inBounds & must try again
s_mov_b64 exec, s[58:59]                           // sgprs -> exec
v_cmp_ne_u64 s[50:51], v[24:25], v[26:27]          // c read during atomic != c read during prior load
	;; [unrolled: 3-line block ×3, first 2 shown]
s_and_b64 s[60:61], s[50:51], s[60:61]             // inBounds & must try again

/* or masks to check for exit */
s_mov_b64 s[50:51], 0x0                            // empty mask
s_or_b64 s[50:51], s[54:55], s[50:51]              // or to add threads
s_or_b64 s[50:51], s[56:57], s[50:51]              // or to add threads
s_or_b64 s[50:51], s[58:59], s[50:51]              // or to add threads
s_or_b64 s[50:51], s[60:61], s[50:51]              // or to add threads
s_or_saveexec_b64 s[52:53], s[50:51]               // apply combined mask
s_cbranch_execz label_0110                         // if exec is zero skip loop

/* atomic CAS loop */
label_0109:

/* apply updated masks and issue writes again */
s_mov_b64 exec, s[54:55]                           // must try again
v_mov_b32 v10, v8                                  // dataV+2 = tmp (new original C)
v_mov_b32 v11, v9                                  // dataV+3 = tmp (new original C)
v_add_f64 v[8:9], v[10:11], v[vgprValuC+16:vgprValuC+16+1] // newC = rC + originalC
_buffer_atomic_cmpswap_b64 v[8:11], v6, s[sgprSrdD:sgprSrdD+3] 0 offen offset:0 glc   // attempt write
s_mov_b64 exec, s[56:57]                           // must try again
v_mov_b32 v14, v12                                 // dataV+2 = tmp (new original C)
v_mov_b32 v15, v13                                 // dataV+3 = tmp (new original C)
v_add_f64 v[12:13], v[14:15], v[vgprValuC+18:vgprValuC+18+1] // newC = rC + originalC
_buffer_atomic_cmpswap_b64 v[12:15], v6, s[sgprSrdD:sgprSrdD+3] 0 offen offset:8 glc   // attempt write
s_mov_b64 exec, s[58:59]                           // must try again
v_mov_b32 v26, v24                                 // dataV+2 = tmp (new original C)
v_mov_b32 v27, v25                                 // dataV+3 = tmp (new original C)
	;; [unrolled: 5-line block ×3, first 2 shown]
v_add_f64 v[28:29], v[30:31], v[vgprValuC+22:vgprValuC+22+1] // newC = rC + originalC
_buffer_atomic_cmpswap_b64 v[28:31], v7, s[sgprSrdD:sgprSrdD+3] 0 offen offset:8 glc   // attempt write
s_waitcnt vmcnt(0)                                 // wait for atomic writes

/* apply masks and check for success */
s_mov_b64 exec, s[54:55]                           // must try again
v_cmp_ne_u64 s[50:51], v[8:9], v[10:11]            // c read during atomic != c read during prior load
s_and_b64 s[54:55], s[50:51], s[54:55]             // inBounds & must try again
s_mov_b64 exec, s[56:57]                           // must try again
v_cmp_ne_u64 s[50:51], v[12:13], v[14:15]          // c read during atomic != c read during prior load
s_and_b64 s[56:57], s[50:51], s[56:57]             // inBounds & must try again
s_mov_b64 exec, s[58:59]                           // must try again
v_cmp_ne_u64 s[50:51], v[24:25], v[26:27]          // c read during atomic != c read during prior load
s_and_b64 s[58:59], s[50:51], s[58:59]             // inBounds & must try again
s_mov_b64 exec, s[60:61]                           // must try again
v_cmp_ne_u64 s[50:51], v[28:29], v[30:31]          // c read during atomic != c read during prior load
s_and_b64 s[60:61], s[50:51], s[60:61]             // inBounds & must try again

/* or masks to check for exit */
s_mov_b64 s[50:51], 0x0                            // empty mask
s_or_b64 s[50:51], s[54:55], s[50:51]              // or to add threads
s_or_b64 s[50:51], s[56:57], s[50:51]              // or to add threads
	;; [unrolled: 1-line block ×4, first 2 shown]
s_or_saveexec_b64 s[52:53], s[50:51]               // apply combined mask
s_cbranch_execnz label_0109                        // try again if not complete
label_0110:
s_mov_b64 exec, -1                                 // full mask -> exec
s_nop 0                                            // 1 wait state required when next inst writes vgprs held by previous dwordx4 store inst
/* optSingleColVgpr=0 optSharedColVgpr=0 optSGPRUsage=None optSrdIncForRow=0 */
s_sleep 1 // optimization: sync and wait
s_barrier

/******************************************/
/* Global Write Alpha Edge Batch #8 (d1,d0,vc1,vc0) = */
/*    (8,0,0,0:vw2:vaw:1); (8,1,0,0:vw2:vaw:1) */
/******************************************/

/* calc coords, apply mask, and issue loads (if necessary) */
/* (d1,vc1,d0,vc0)=(8,0,0,0) */
_v_add_co_u32 v1, vcc, v1, 4                       // coord1.1: coord1Vgpr += d1*sg1*VW + vc1

/* Fix for UseInitialStridesCD, emitAddressSetupCode */
s_mul_i32 s50, s[sgprStrideC1J], 4                 // scale stride
_v_add_u32 v2, v2, s50                             // ROWINC- Move cinRowPtr to next row
s_mul_i32 s50, s[sgprStrideD1J], 4                 // scale stride
_v_add_u32 v3, v3, s50                             // Move coutRowPtr to next row
v_cmp_lt_u32 s[50:51], v0, s[sgprSizeI]            // coord0 < size0
v_cmp_lt_u32 s[54:55], v1, s[sgprSizeJ]            // coord1 < size1
s_and_b64 s[54:55], s[50:51], s[54:55]             // in0 && in1
_v_add_lshl_u32 v6, v3, v0, 0x3                    // scaleToBpe: accumulate d0 lower and *= bpe into Cin addr
v_cndmask_b32 v6, -1, v6, s[54:55]                 // LDD clip if OOB. offset
_buffer_load_b128 v[12:15], v6, s[sgprSrdD:sgprSrdD+3], 0, offen offset:0 // load D (atomic) bpm=16 vaw=1
/* (d1,vc1,d0,vc0)=(8,0,1,0) */
s_mov_b32 s50, 128                                 // coordOffset0 d0=1 vc0=0
_v_add_co_u32 v4, vcc, v0, s50                     // coord0.2: coord0 += d0*sg0*VW + vc0
v_cmp_lt_u32 s[50:51], v4, s[sgprSizeI]            // coord0 < size0
v_cmp_lt_u32 s[58:59], v1, s[sgprSizeJ]            // coord1 < size1
s_and_b64 s[58:59], s[50:51], s[58:59]             // in0 && in1
_v_add_lshl_u32 v7, v3, v4, 0x3                    // scaleToBpe: accumulate d0 lower and *= bpe into Cin addr
v_cndmask_b32 v7, -1, v7, s[58:59]                 // LDD clip if OOB. offset
_buffer_load_b128 v[28:31], v7, s[sgprSrdD:sgprSrdD+3], 0, offen offset:0 // load D (atomic) bpm=16 vaw=1
v_accvgpr_read_b32 v[vgprValuC+16], acc64 // copy acc to vreg[64]
v_accvgpr_read_b32 v[vgprValuC+17], acc65 // copy acc to vreg[65]
v_accvgpr_read_b32 v[vgprValuC+18], acc72 // copy acc to vreg[66]
v_accvgpr_read_b32 v[vgprValuC+19], acc73 // copy acc to vreg[67]
v_accvgpr_read_b32 v[vgprValuC+20], acc80 // copy acc to vreg[68]
v_accvgpr_read_b32 v[vgprValuC+21], acc81 // copy acc to vreg[69]
v_accvgpr_read_b32 v[vgprValuC+22], acc88 // copy acc to vreg[70]
v_accvgpr_read_b32 v[vgprValuC+23], acc89 // copy acc to vreg[71]
s_nop 1                                            // 2 wait states required before reading vgpr

/* rC *= alpha batchElements=[(8, 0, 0, 0), (8, 1, 0, 0)] */
v_mul_f64 v[vgprValuC+16:vgprValuC+16+1], s[sgprAlpha:sgprAlpha+1], v[vgprValuC+16:vgprValuC+16+1] // *= alpha
v_mul_f64 v[vgprValuC+18:vgprValuC+18+1], s[sgprAlpha:sgprAlpha+1], v[vgprValuC+18:vgprValuC+18+1] // *= alpha
	;; [unrolled: 1-line block ×4, first 2 shown]
s_waitcnt vmcnt(0)                                 // wait C (atomic)

/* issue first atomic writes */
s_mov_b64 exec, s[54:55]                           // sgprs -> exec (before atomic)
v_mov_b32 v10, v12                                 // v_mov for reordering loaded data
v_mov_b32 v11, v13                                 // v_mov for reordering loaded data
v_add_f64 v[8:9], v[10:11], v[vgprValuC+16:vgprValuC+16+1] // desired value
_buffer_atomic_cmpswap_b64 v[8:11], v6, s[sgprSrdD:sgprSrdD+3] 0 offen offset:0 glc   // attempt write
v_add_f64 v[12:13], v[14:15], v[vgprValuC+18:vgprValuC+18+1] // desired value
_buffer_atomic_cmpswap_b64 v[12:15], v6, s[sgprSrdD:sgprSrdD+3] 0 offen offset:8 glc   // attempt write
s_mov_b64 exec, s[58:59]                           // sgprs -> exec (before atomic)
v_mov_b32 v26, v28                                 // v_mov for reordering loaded data
v_mov_b32 v27, v29                                 // v_mov for reordering loaded data
v_add_f64 v[24:25], v[26:27], v[vgprValuC+20:vgprValuC+20+1] // desired value
_buffer_atomic_cmpswap_b64 v[24:27], v7, s[sgprSrdD:sgprSrdD+3] 0 offen offset:0 glc   // attempt write
v_add_f64 v[28:29], v[30:31], v[vgprValuC+22:vgprValuC+22+1] // desired value
_buffer_atomic_cmpswap_b64 v[28:31], v7, s[sgprSrdD:sgprSrdD+3] 0 offen offset:8 glc   // attempt write
s_mov_b64 s[56:57], s[54:55]                       // copy out of range mask from the first one
s_mov_b64 s[60:61], s[58:59]                       // copy out of range mask from the first one
s_waitcnt vmcnt(0)                                 // wait for atomic writes

/* check success of writes, update masks */
s_mov_b64 exec, s[54:55]                           // sgprs -> exec
v_cmp_ne_u64 s[50:51], v[8:9], v[10:11]            // c read during atomic != c read during prior load
s_and_b64 s[54:55], s[50:51], s[54:55]             // inBounds & must try again
s_mov_b64 exec, s[56:57]                           // sgprs -> exec
v_cmp_ne_u64 s[50:51], v[12:13], v[14:15]          // c read during atomic != c read during prior load
s_and_b64 s[56:57], s[50:51], s[56:57]             // inBounds & must try again
s_mov_b64 exec, s[58:59]                           // sgprs -> exec
v_cmp_ne_u64 s[50:51], v[24:25], v[26:27]          // c read during atomic != c read during prior load
	;; [unrolled: 3-line block ×3, first 2 shown]
s_and_b64 s[60:61], s[50:51], s[60:61]             // inBounds & must try again

/* or masks to check for exit */
s_mov_b64 s[50:51], 0x0                            // empty mask
s_or_b64 s[50:51], s[54:55], s[50:51]              // or to add threads
s_or_b64 s[50:51], s[56:57], s[50:51]              // or to add threads
s_or_b64 s[50:51], s[58:59], s[50:51]              // or to add threads
s_or_b64 s[50:51], s[60:61], s[50:51]              // or to add threads
s_or_saveexec_b64 s[52:53], s[50:51]               // apply combined mask
s_cbranch_execz label_0112                         // if exec is zero skip loop

/* atomic CAS loop */
label_0111:

/* apply updated masks and issue writes again */
s_mov_b64 exec, s[54:55]                           // must try again
v_mov_b32 v10, v8                                  // dataV+2 = tmp (new original C)
v_mov_b32 v11, v9                                  // dataV+3 = tmp (new original C)
v_add_f64 v[8:9], v[10:11], v[vgprValuC+16:vgprValuC+16+1] // newC = rC + originalC
_buffer_atomic_cmpswap_b64 v[8:11], v6, s[sgprSrdD:sgprSrdD+3] 0 offen offset:0 glc   // attempt write
s_mov_b64 exec, s[56:57]                           // must try again
v_mov_b32 v14, v12                                 // dataV+2 = tmp (new original C)
v_mov_b32 v15, v13                                 // dataV+3 = tmp (new original C)
v_add_f64 v[12:13], v[14:15], v[vgprValuC+18:vgprValuC+18+1] // newC = rC + originalC
_buffer_atomic_cmpswap_b64 v[12:15], v6, s[sgprSrdD:sgprSrdD+3] 0 offen offset:8 glc   // attempt write
s_mov_b64 exec, s[58:59]                           // must try again
v_mov_b32 v26, v24                                 // dataV+2 = tmp (new original C)
v_mov_b32 v27, v25                                 // dataV+3 = tmp (new original C)
	;; [unrolled: 5-line block ×3, first 2 shown]
v_add_f64 v[28:29], v[30:31], v[vgprValuC+22:vgprValuC+22+1] // newC = rC + originalC
_buffer_atomic_cmpswap_b64 v[28:31], v7, s[sgprSrdD:sgprSrdD+3] 0 offen offset:8 glc   // attempt write
s_waitcnt vmcnt(0)                                 // wait for atomic writes

/* apply masks and check for success */
s_mov_b64 exec, s[54:55]                           // must try again
v_cmp_ne_u64 s[50:51], v[8:9], v[10:11]            // c read during atomic != c read during prior load
s_and_b64 s[54:55], s[50:51], s[54:55]             // inBounds & must try again
s_mov_b64 exec, s[56:57]                           // must try again
v_cmp_ne_u64 s[50:51], v[12:13], v[14:15]          // c read during atomic != c read during prior load
s_and_b64 s[56:57], s[50:51], s[56:57]             // inBounds & must try again
s_mov_b64 exec, s[58:59]                           // must try again
v_cmp_ne_u64 s[50:51], v[24:25], v[26:27]          // c read during atomic != c read during prior load
	;; [unrolled: 3-line block ×3, first 2 shown]
s_and_b64 s[60:61], s[50:51], s[60:61]             // inBounds & must try again

/* or masks to check for exit */
s_mov_b64 s[50:51], 0x0                            // empty mask
s_or_b64 s[50:51], s[54:55], s[50:51]              // or to add threads
s_or_b64 s[50:51], s[56:57], s[50:51]              // or to add threads
	;; [unrolled: 1-line block ×4, first 2 shown]
s_or_saveexec_b64 s[52:53], s[50:51]               // apply combined mask
s_cbranch_execnz label_0111                        // try again if not complete
label_0112:
s_mov_b64 exec, -1                                 // full mask -> exec
s_nop 0                                            // 1 wait state required when next inst writes vgprs held by previous dwordx4 store inst
/* optSingleColVgpr=0 optSharedColVgpr=0 optSGPRUsage=None optSrdIncForRow=0 */
s_sleep 1 // optimization: sync and wait
s_barrier

/******************************************/
/* Global Write Alpha Edge Batch #9 (d1,d0,vc1,vc0) = */
/*    (9,0,0,0:vw2:vaw:1); (9,1,0,0:vw2:vaw:1) */
/******************************************/

/* calc coords, apply mask, and issue loads (if necessary) */
/* (d1,vc1,d0,vc0)=(9,0,0,0) */
_v_add_co_u32 v1, vcc, v1, 4                       // coord1.1: coord1Vgpr += d1*sg1*VW + vc1

/* Fix for UseInitialStridesCD, emitAddressSetupCode */
s_mul_i32 s50, s[sgprStrideC1J], 4                 // scale stride
_v_add_u32 v2, v2, s50                             // ROWINC- Move cinRowPtr to next row
s_mul_i32 s50, s[sgprStrideD1J], 4                 // scale stride
_v_add_u32 v3, v3, s50                             // Move coutRowPtr to next row
v_cmp_lt_u32 s[50:51], v0, s[sgprSizeI]            // coord0 < size0
v_cmp_lt_u32 s[54:55], v1, s[sgprSizeJ]            // coord1 < size1
s_and_b64 s[54:55], s[50:51], s[54:55]             // in0 && in1
_v_add_lshl_u32 v6, v3, v0, 0x3                    // scaleToBpe: accumulate d0 lower and *= bpe into Cin addr
v_cndmask_b32 v6, -1, v6, s[54:55]                 // LDD clip if OOB. offset
_buffer_load_b128 v[12:15], v6, s[sgprSrdD:sgprSrdD+3], 0, offen offset:0 // load D (atomic) bpm=16 vaw=1
/* (d1,vc1,d0,vc0)=(9,0,1,0) */
s_mov_b32 s50, 128                                 // coordOffset0 d0=1 vc0=0
_v_add_co_u32 v4, vcc, v0, s50                     // coord0.2: coord0 += d0*sg0*VW + vc0
v_cmp_lt_u32 s[50:51], v4, s[sgprSizeI]            // coord0 < size0
v_cmp_lt_u32 s[58:59], v1, s[sgprSizeJ]            // coord1 < size1
s_and_b64 s[58:59], s[50:51], s[58:59]             // in0 && in1
_v_add_lshl_u32 v7, v3, v4, 0x3                    // scaleToBpe: accumulate d0 lower and *= bpe into Cin addr
v_cndmask_b32 v7, -1, v7, s[58:59]                 // LDD clip if OOB. offset
_buffer_load_b128 v[28:31], v7, s[sgprSrdD:sgprSrdD+3], 0, offen offset:0 // load D (atomic) bpm=16 vaw=1
v_accvgpr_read_b32 v[vgprValuC+16], acc66 // copy acc to vreg[72]
v_accvgpr_read_b32 v[vgprValuC+17], acc67 // copy acc to vreg[73]
v_accvgpr_read_b32 v[vgprValuC+18], acc74 // copy acc to vreg[74]
v_accvgpr_read_b32 v[vgprValuC+19], acc75 // copy acc to vreg[75]
v_accvgpr_read_b32 v[vgprValuC+20], acc82 // copy acc to vreg[76]
v_accvgpr_read_b32 v[vgprValuC+21], acc83 // copy acc to vreg[77]
v_accvgpr_read_b32 v[vgprValuC+22], acc90 // copy acc to vreg[78]
v_accvgpr_read_b32 v[vgprValuC+23], acc91 // copy acc to vreg[79]
s_nop 1                                            // 2 wait states required before reading vgpr

/* rC *= alpha batchElements=[(9, 0, 0, 0), (9, 1, 0, 0)] */
v_mul_f64 v[vgprValuC+16:vgprValuC+16+1], s[sgprAlpha:sgprAlpha+1], v[vgprValuC+16:vgprValuC+16+1] // *= alpha
v_mul_f64 v[vgprValuC+18:vgprValuC+18+1], s[sgprAlpha:sgprAlpha+1], v[vgprValuC+18:vgprValuC+18+1] // *= alpha
	;; [unrolled: 1-line block ×4, first 2 shown]
s_waitcnt vmcnt(0)                                 // wait C (atomic)

/* issue first atomic writes */
s_mov_b64 exec, s[54:55]                           // sgprs -> exec (before atomic)
v_mov_b32 v10, v12                                 // v_mov for reordering loaded data
v_mov_b32 v11, v13                                 // v_mov for reordering loaded data
v_add_f64 v[8:9], v[10:11], v[vgprValuC+16:vgprValuC+16+1] // desired value
_buffer_atomic_cmpswap_b64 v[8:11], v6, s[sgprSrdD:sgprSrdD+3] 0 offen offset:0 glc   // attempt write
v_add_f64 v[12:13], v[14:15], v[vgprValuC+18:vgprValuC+18+1] // desired value
_buffer_atomic_cmpswap_b64 v[12:15], v6, s[sgprSrdD:sgprSrdD+3] 0 offen offset:8 glc   // attempt write
s_mov_b64 exec, s[58:59]                           // sgprs -> exec (before atomic)
v_mov_b32 v26, v28                                 // v_mov for reordering loaded data
v_mov_b32 v27, v29                                 // v_mov for reordering loaded data
v_add_f64 v[24:25], v[26:27], v[vgprValuC+20:vgprValuC+20+1] // desired value
_buffer_atomic_cmpswap_b64 v[24:27], v7, s[sgprSrdD:sgprSrdD+3] 0 offen offset:0 glc   // attempt write
v_add_f64 v[28:29], v[30:31], v[vgprValuC+22:vgprValuC+22+1] // desired value
_buffer_atomic_cmpswap_b64 v[28:31], v7, s[sgprSrdD:sgprSrdD+3] 0 offen offset:8 glc   // attempt write
s_mov_b64 s[56:57], s[54:55]                       // copy out of range mask from the first one
s_mov_b64 s[60:61], s[58:59]                       // copy out of range mask from the first one
s_waitcnt vmcnt(0)                                 // wait for atomic writes

/* check success of writes, update masks */
s_mov_b64 exec, s[54:55]                           // sgprs -> exec
v_cmp_ne_u64 s[50:51], v[8:9], v[10:11]            // c read during atomic != c read during prior load
s_and_b64 s[54:55], s[50:51], s[54:55]             // inBounds & must try again
s_mov_b64 exec, s[56:57]                           // sgprs -> exec
v_cmp_ne_u64 s[50:51], v[12:13], v[14:15]          // c read during atomic != c read during prior load
s_and_b64 s[56:57], s[50:51], s[56:57]             // inBounds & must try again
s_mov_b64 exec, s[58:59]                           // sgprs -> exec
v_cmp_ne_u64 s[50:51], v[24:25], v[26:27]          // c read during atomic != c read during prior load
	;; [unrolled: 3-line block ×3, first 2 shown]
s_and_b64 s[60:61], s[50:51], s[60:61]             // inBounds & must try again

/* or masks to check for exit */
s_mov_b64 s[50:51], 0x0                            // empty mask
s_or_b64 s[50:51], s[54:55], s[50:51]              // or to add threads
s_or_b64 s[50:51], s[56:57], s[50:51]              // or to add threads
	;; [unrolled: 1-line block ×4, first 2 shown]
s_or_saveexec_b64 s[52:53], s[50:51]               // apply combined mask
s_cbranch_execz label_0114                         // if exec is zero skip loop

/* atomic CAS loop */
label_0113:

/* apply updated masks and issue writes again */
s_mov_b64 exec, s[54:55]                           // must try again
v_mov_b32 v10, v8                                  // dataV+2 = tmp (new original C)
v_mov_b32 v11, v9                                  // dataV+3 = tmp (new original C)
v_add_f64 v[8:9], v[10:11], v[vgprValuC+16:vgprValuC+16+1] // newC = rC + originalC
_buffer_atomic_cmpswap_b64 v[8:11], v6, s[sgprSrdD:sgprSrdD+3] 0 offen offset:0 glc   // attempt write
s_mov_b64 exec, s[56:57]                           // must try again
v_mov_b32 v14, v12                                 // dataV+2 = tmp (new original C)
v_mov_b32 v15, v13                                 // dataV+3 = tmp (new original C)
v_add_f64 v[12:13], v[14:15], v[vgprValuC+18:vgprValuC+18+1] // newC = rC + originalC
_buffer_atomic_cmpswap_b64 v[12:15], v6, s[sgprSrdD:sgprSrdD+3] 0 offen offset:8 glc   // attempt write
s_mov_b64 exec, s[58:59]                           // must try again
v_mov_b32 v26, v24                                 // dataV+2 = tmp (new original C)
v_mov_b32 v27, v25                                 // dataV+3 = tmp (new original C)
	;; [unrolled: 5-line block ×3, first 2 shown]
v_add_f64 v[28:29], v[30:31], v[vgprValuC+22:vgprValuC+22+1] // newC = rC + originalC
_buffer_atomic_cmpswap_b64 v[28:31], v7, s[sgprSrdD:sgprSrdD+3] 0 offen offset:8 glc   // attempt write
s_waitcnt vmcnt(0)                                 // wait for atomic writes

/* apply masks and check for success */
s_mov_b64 exec, s[54:55]                           // must try again
v_cmp_ne_u64 s[50:51], v[8:9], v[10:11]            // c read during atomic != c read during prior load
s_and_b64 s[54:55], s[50:51], s[54:55]             // inBounds & must try again
s_mov_b64 exec, s[56:57]                           // must try again
v_cmp_ne_u64 s[50:51], v[12:13], v[14:15]          // c read during atomic != c read during prior load
s_and_b64 s[56:57], s[50:51], s[56:57]             // inBounds & must try again
s_mov_b64 exec, s[58:59]                           // must try again
v_cmp_ne_u64 s[50:51], v[24:25], v[26:27]          // c read during atomic != c read during prior load
	;; [unrolled: 3-line block ×3, first 2 shown]
s_and_b64 s[60:61], s[50:51], s[60:61]             // inBounds & must try again

/* or masks to check for exit */
s_mov_b64 s[50:51], 0x0                            // empty mask
s_or_b64 s[50:51], s[54:55], s[50:51]              // or to add threads
s_or_b64 s[50:51], s[56:57], s[50:51]              // or to add threads
	;; [unrolled: 1-line block ×4, first 2 shown]
s_or_saveexec_b64 s[52:53], s[50:51]               // apply combined mask
s_cbranch_execnz label_0113                        // try again if not complete
label_0114:
s_mov_b64 exec, -1                                 // full mask -> exec
s_nop 0                                            // 1 wait state required when next inst writes vgprs held by previous dwordx4 store inst
/* optSingleColVgpr=0 optSharedColVgpr=0 optSGPRUsage=None optSrdIncForRow=0 */
s_sleep 1 // optimization: sync and wait
s_barrier

/******************************************/
/* Global Write Alpha Edge Batch #10 (d1,d0,vc1,vc0) = */
/*    (10,0,0,0:vw2:vaw:1); (10,1,0,0:vw2:vaw:1) */
/******************************************/

/* calc coords, apply mask, and issue loads (if necessary) */
/* (d1,vc1,d0,vc0)=(10,0,0,0) */
_v_add_co_u32 v1, vcc, v1, 4                       // coord1.1: coord1Vgpr += d1*sg1*VW + vc1

/* Fix for UseInitialStridesCD, emitAddressSetupCode */
s_mul_i32 s50, s[sgprStrideC1J], 4                 // scale stride
_v_add_u32 v2, v2, s50                             // ROWINC- Move cinRowPtr to next row
s_mul_i32 s50, s[sgprStrideD1J], 4                 // scale stride
_v_add_u32 v3, v3, s50                             // Move coutRowPtr to next row
v_cmp_lt_u32 s[50:51], v0, s[sgprSizeI]            // coord0 < size0
v_cmp_lt_u32 s[54:55], v1, s[sgprSizeJ]            // coord1 < size1
s_and_b64 s[54:55], s[50:51], s[54:55]             // in0 && in1
_v_add_lshl_u32 v6, v3, v0, 0x3                    // scaleToBpe: accumulate d0 lower and *= bpe into Cin addr
v_cndmask_b32 v6, -1, v6, s[54:55]                 // LDD clip if OOB. offset
_buffer_load_b128 v[12:15], v6, s[sgprSrdD:sgprSrdD+3], 0, offen offset:0 // load D (atomic) bpm=16 vaw=1
/* (d1,vc1,d0,vc0)=(10,0,1,0) */
s_mov_b32 s50, 128                                 // coordOffset0 d0=1 vc0=0
_v_add_co_u32 v4, vcc, v0, s50                     // coord0.2: coord0 += d0*sg0*VW + vc0
v_cmp_lt_u32 s[50:51], v4, s[sgprSizeI]            // coord0 < size0
v_cmp_lt_u32 s[58:59], v1, s[sgprSizeJ]            // coord1 < size1
s_and_b64 s[58:59], s[50:51], s[58:59]             // in0 && in1
_v_add_lshl_u32 v7, v3, v4, 0x3                    // scaleToBpe: accumulate d0 lower and *= bpe into Cin addr
v_cndmask_b32 v7, -1, v7, s[58:59]                 // LDD clip if OOB. offset
_buffer_load_b128 v[28:31], v7, s[sgprSrdD:sgprSrdD+3], 0, offen offset:0 // load D (atomic) bpm=16 vaw=1
v_accvgpr_read_b32 v[vgprValuC+16], acc68 // copy acc to vreg[80]
v_accvgpr_read_b32 v[vgprValuC+17], acc69 // copy acc to vreg[81]
v_accvgpr_read_b32 v[vgprValuC+18], acc76 // copy acc to vreg[82]
v_accvgpr_read_b32 v[vgprValuC+19], acc77 // copy acc to vreg[83]
v_accvgpr_read_b32 v[vgprValuC+20], acc84 // copy acc to vreg[84]
v_accvgpr_read_b32 v[vgprValuC+21], acc85 // copy acc to vreg[85]
v_accvgpr_read_b32 v[vgprValuC+22], acc92 // copy acc to vreg[86]
v_accvgpr_read_b32 v[vgprValuC+23], acc93 // copy acc to vreg[87]
s_nop 1                                            // 2 wait states required before reading vgpr

/* rC *= alpha batchElements=[(10, 0, 0, 0), (10, 1, 0, 0)] */
v_mul_f64 v[vgprValuC+16:vgprValuC+16+1], s[sgprAlpha:sgprAlpha+1], v[vgprValuC+16:vgprValuC+16+1] // *= alpha
v_mul_f64 v[vgprValuC+18:vgprValuC+18+1], s[sgprAlpha:sgprAlpha+1], v[vgprValuC+18:vgprValuC+18+1] // *= alpha
	;; [unrolled: 1-line block ×4, first 2 shown]
s_waitcnt vmcnt(0)                                 // wait C (atomic)

/* issue first atomic writes */
s_mov_b64 exec, s[54:55]                           // sgprs -> exec (before atomic)
v_mov_b32 v10, v12                                 // v_mov for reordering loaded data
v_mov_b32 v11, v13                                 // v_mov for reordering loaded data
v_add_f64 v[8:9], v[10:11], v[vgprValuC+16:vgprValuC+16+1] // desired value
_buffer_atomic_cmpswap_b64 v[8:11], v6, s[sgprSrdD:sgprSrdD+3] 0 offen offset:0 glc   // attempt write
v_add_f64 v[12:13], v[14:15], v[vgprValuC+18:vgprValuC+18+1] // desired value
_buffer_atomic_cmpswap_b64 v[12:15], v6, s[sgprSrdD:sgprSrdD+3] 0 offen offset:8 glc   // attempt write
s_mov_b64 exec, s[58:59]                           // sgprs -> exec (before atomic)
v_mov_b32 v26, v28                                 // v_mov for reordering loaded data
v_mov_b32 v27, v29                                 // v_mov for reordering loaded data
v_add_f64 v[24:25], v[26:27], v[vgprValuC+20:vgprValuC+20+1] // desired value
_buffer_atomic_cmpswap_b64 v[24:27], v7, s[sgprSrdD:sgprSrdD+3] 0 offen offset:0 glc   // attempt write
v_add_f64 v[28:29], v[30:31], v[vgprValuC+22:vgprValuC+22+1] // desired value
_buffer_atomic_cmpswap_b64 v[28:31], v7, s[sgprSrdD:sgprSrdD+3] 0 offen offset:8 glc   // attempt write
s_mov_b64 s[56:57], s[54:55]                       // copy out of range mask from the first one
s_mov_b64 s[60:61], s[58:59]                       // copy out of range mask from the first one
s_waitcnt vmcnt(0)                                 // wait for atomic writes

/* check success of writes, update masks */
s_mov_b64 exec, s[54:55]                           // sgprs -> exec
v_cmp_ne_u64 s[50:51], v[8:9], v[10:11]            // c read during atomic != c read during prior load
s_and_b64 s[54:55], s[50:51], s[54:55]             // inBounds & must try again
s_mov_b64 exec, s[56:57]                           // sgprs -> exec
v_cmp_ne_u64 s[50:51], v[12:13], v[14:15]          // c read during atomic != c read during prior load
s_and_b64 s[56:57], s[50:51], s[56:57]             // inBounds & must try again
s_mov_b64 exec, s[58:59]                           // sgprs -> exec
v_cmp_ne_u64 s[50:51], v[24:25], v[26:27]          // c read during atomic != c read during prior load
	;; [unrolled: 3-line block ×3, first 2 shown]
s_and_b64 s[60:61], s[50:51], s[60:61]             // inBounds & must try again

/* or masks to check for exit */
s_mov_b64 s[50:51], 0x0                            // empty mask
s_or_b64 s[50:51], s[54:55], s[50:51]              // or to add threads
s_or_b64 s[50:51], s[56:57], s[50:51]              // or to add threads
	;; [unrolled: 1-line block ×4, first 2 shown]
s_or_saveexec_b64 s[52:53], s[50:51]               // apply combined mask
s_cbranch_execz label_0116                         // if exec is zero skip loop

/* atomic CAS loop */
label_0115:

/* apply updated masks and issue writes again */
s_mov_b64 exec, s[54:55]                           // must try again
v_mov_b32 v10, v8                                  // dataV+2 = tmp (new original C)
v_mov_b32 v11, v9                                  // dataV+3 = tmp (new original C)
v_add_f64 v[8:9], v[10:11], v[vgprValuC+16:vgprValuC+16+1] // newC = rC + originalC
_buffer_atomic_cmpswap_b64 v[8:11], v6, s[sgprSrdD:sgprSrdD+3] 0 offen offset:0 glc   // attempt write
s_mov_b64 exec, s[56:57]                           // must try again
v_mov_b32 v14, v12                                 // dataV+2 = tmp (new original C)
v_mov_b32 v15, v13                                 // dataV+3 = tmp (new original C)
v_add_f64 v[12:13], v[14:15], v[vgprValuC+18:vgprValuC+18+1] // newC = rC + originalC
_buffer_atomic_cmpswap_b64 v[12:15], v6, s[sgprSrdD:sgprSrdD+3] 0 offen offset:8 glc   // attempt write
s_mov_b64 exec, s[58:59]                           // must try again
v_mov_b32 v26, v24                                 // dataV+2 = tmp (new original C)
v_mov_b32 v27, v25                                 // dataV+3 = tmp (new original C)
v_add_f64 v[24:25], v[26:27], v[vgprValuC+20:vgprValuC+20+1] // newC = rC + originalC
_buffer_atomic_cmpswap_b64 v[24:27], v7, s[sgprSrdD:sgprSrdD+3] 0 offen offset:0 glc   // attempt write
s_mov_b64 exec, s[60:61]                           // must try again
v_mov_b32 v30, v28                                 // dataV+2 = tmp (new original C)
v_mov_b32 v31, v29                                 // dataV+3 = tmp (new original C)
v_add_f64 v[28:29], v[30:31], v[vgprValuC+22:vgprValuC+22+1] // newC = rC + originalC
_buffer_atomic_cmpswap_b64 v[28:31], v7, s[sgprSrdD:sgprSrdD+3] 0 offen offset:8 glc   // attempt write
s_waitcnt vmcnt(0)                                 // wait for atomic writes

/* apply masks and check for success */
s_mov_b64 exec, s[54:55]                           // must try again
v_cmp_ne_u64 s[50:51], v[8:9], v[10:11]            // c read during atomic != c read during prior load
s_and_b64 s[54:55], s[50:51], s[54:55]             // inBounds & must try again
s_mov_b64 exec, s[56:57]                           // must try again
v_cmp_ne_u64 s[50:51], v[12:13], v[14:15]          // c read during atomic != c read during prior load
s_and_b64 s[56:57], s[50:51], s[56:57]             // inBounds & must try again
s_mov_b64 exec, s[58:59]                           // must try again
v_cmp_ne_u64 s[50:51], v[24:25], v[26:27]          // c read during atomic != c read during prior load
s_and_b64 s[58:59], s[50:51], s[58:59]             // inBounds & must try again
s_mov_b64 exec, s[60:61]                           // must try again
v_cmp_ne_u64 s[50:51], v[28:29], v[30:31]          // c read during atomic != c read during prior load
s_and_b64 s[60:61], s[50:51], s[60:61]             // inBounds & must try again

/* or masks to check for exit */
s_mov_b64 s[50:51], 0x0                            // empty mask
s_or_b64 s[50:51], s[54:55], s[50:51]              // or to add threads
s_or_b64 s[50:51], s[56:57], s[50:51]              // or to add threads
	;; [unrolled: 1-line block ×4, first 2 shown]
s_or_saveexec_b64 s[52:53], s[50:51]               // apply combined mask
s_cbranch_execnz label_0115                        // try again if not complete
label_0116:
s_mov_b64 exec, -1                                 // full mask -> exec
s_nop 0                                            // 1 wait state required when next inst writes vgprs held by previous dwordx4 store inst
/* optSingleColVgpr=0 optSharedColVgpr=0 optSGPRUsage=None optSrdIncForRow=0 */
s_sleep 1 // optimization: sync and wait
s_barrier

/******************************************/
/* Global Write Alpha Edge Batch #11 (d1,d0,vc1,vc0) = */
/*    (11,0,0,0:vw2:vaw:1); (11,1,0,0:vw2:vaw:1) */
/******************************************/

/* calc coords, apply mask, and issue loads (if necessary) */
/* (d1,vc1,d0,vc0)=(11,0,0,0) */
_v_add_co_u32 v1, vcc, v1, 4                       // coord1.1: coord1Vgpr += d1*sg1*VW + vc1

/* Fix for UseInitialStridesCD, emitAddressSetupCode */
s_mul_i32 s50, s[sgprStrideC1J], 4                 // scale stride
_v_add_u32 v2, v2, s50                             // ROWINC- Move cinRowPtr to next row
s_mul_i32 s50, s[sgprStrideD1J], 4                 // scale stride
_v_add_u32 v3, v3, s50                             // Move coutRowPtr to next row
v_cmp_lt_u32 s[50:51], v0, s[sgprSizeI]            // coord0 < size0
v_cmp_lt_u32 s[54:55], v1, s[sgprSizeJ]            // coord1 < size1
s_and_b64 s[54:55], s[50:51], s[54:55]             // in0 && in1
_v_add_lshl_u32 v6, v3, v0, 0x3                    // scaleToBpe: accumulate d0 lower and *= bpe into Cin addr
v_cndmask_b32 v6, -1, v6, s[54:55]                 // LDD clip if OOB. offset
_buffer_load_b128 v[12:15], v6, s[sgprSrdD:sgprSrdD+3], 0, offen offset:0 // load D (atomic) bpm=16 vaw=1
/* (d1,vc1,d0,vc0)=(11,0,1,0) */
s_mov_b32 s50, 128                                 // coordOffset0 d0=1 vc0=0
_v_add_co_u32 v4, vcc, v0, s50                     // coord0.2: coord0 += d0*sg0*VW + vc0
v_cmp_lt_u32 s[50:51], v4, s[sgprSizeI]            // coord0 < size0
v_cmp_lt_u32 s[58:59], v1, s[sgprSizeJ]            // coord1 < size1
s_and_b64 s[58:59], s[50:51], s[58:59]             // in0 && in1
_v_add_lshl_u32 v7, v3, v4, 0x3                    // scaleToBpe: accumulate d0 lower and *= bpe into Cin addr
v_cndmask_b32 v7, -1, v7, s[58:59]                 // LDD clip if OOB. offset
_buffer_load_b128 v[28:31], v7, s[sgprSrdD:sgprSrdD+3], 0, offen offset:0 // load D (atomic) bpm=16 vaw=1
v_accvgpr_read_b32 v[vgprValuC+16], acc70 // copy acc to vreg[88]
v_accvgpr_read_b32 v[vgprValuC+17], acc71 // copy acc to vreg[89]
v_accvgpr_read_b32 v[vgprValuC+18], acc78 // copy acc to vreg[90]
v_accvgpr_read_b32 v[vgprValuC+19], acc79 // copy acc to vreg[91]
v_accvgpr_read_b32 v[vgprValuC+20], acc86 // copy acc to vreg[92]
v_accvgpr_read_b32 v[vgprValuC+21], acc87 // copy acc to vreg[93]
v_accvgpr_read_b32 v[vgprValuC+22], acc94 // copy acc to vreg[94]
v_accvgpr_read_b32 v[vgprValuC+23], acc95 // copy acc to vreg[95]
s_nop 1                                            // 2 wait states required before reading vgpr

/* rC *= alpha batchElements=[(11, 0, 0, 0), (11, 1, 0, 0)] */
v_mul_f64 v[vgprValuC+16:vgprValuC+16+1], s[sgprAlpha:sgprAlpha+1], v[vgprValuC+16:vgprValuC+16+1] // *= alpha
v_mul_f64 v[vgprValuC+18:vgprValuC+18+1], s[sgprAlpha:sgprAlpha+1], v[vgprValuC+18:vgprValuC+18+1] // *= alpha
	;; [unrolled: 1-line block ×4, first 2 shown]
s_waitcnt vmcnt(0)                                 // wait C (atomic)

/* issue first atomic writes */
s_mov_b64 exec, s[54:55]                           // sgprs -> exec (before atomic)
v_mov_b32 v10, v12                                 // v_mov for reordering loaded data
v_mov_b32 v11, v13                                 // v_mov for reordering loaded data
v_add_f64 v[8:9], v[10:11], v[vgprValuC+16:vgprValuC+16+1] // desired value
_buffer_atomic_cmpswap_b64 v[8:11], v6, s[sgprSrdD:sgprSrdD+3] 0 offen offset:0 glc   // attempt write
v_add_f64 v[12:13], v[14:15], v[vgprValuC+18:vgprValuC+18+1] // desired value
_buffer_atomic_cmpswap_b64 v[12:15], v6, s[sgprSrdD:sgprSrdD+3] 0 offen offset:8 glc   // attempt write
s_mov_b64 exec, s[58:59]                           // sgprs -> exec (before atomic)
v_mov_b32 v26, v28                                 // v_mov for reordering loaded data
v_mov_b32 v27, v29                                 // v_mov for reordering loaded data
v_add_f64 v[24:25], v[26:27], v[vgprValuC+20:vgprValuC+20+1] // desired value
_buffer_atomic_cmpswap_b64 v[24:27], v7, s[sgprSrdD:sgprSrdD+3] 0 offen offset:0 glc   // attempt write
v_add_f64 v[28:29], v[30:31], v[vgprValuC+22:vgprValuC+22+1] // desired value
_buffer_atomic_cmpswap_b64 v[28:31], v7, s[sgprSrdD:sgprSrdD+3] 0 offen offset:8 glc   // attempt write
s_mov_b64 s[56:57], s[54:55]                       // copy out of range mask from the first one
s_mov_b64 s[60:61], s[58:59]                       // copy out of range mask from the first one
s_waitcnt vmcnt(0)                                 // wait for atomic writes

/* check success of writes, update masks */
s_mov_b64 exec, s[54:55]                           // sgprs -> exec
v_cmp_ne_u64 s[50:51], v[8:9], v[10:11]            // c read during atomic != c read during prior load
s_and_b64 s[54:55], s[50:51], s[54:55]             // inBounds & must try again
s_mov_b64 exec, s[56:57]                           // sgprs -> exec
v_cmp_ne_u64 s[50:51], v[12:13], v[14:15]          // c read during atomic != c read during prior load
s_and_b64 s[56:57], s[50:51], s[56:57]             // inBounds & must try again
s_mov_b64 exec, s[58:59]                           // sgprs -> exec
v_cmp_ne_u64 s[50:51], v[24:25], v[26:27]          // c read during atomic != c read during prior load
	;; [unrolled: 3-line block ×3, first 2 shown]
s_and_b64 s[60:61], s[50:51], s[60:61]             // inBounds & must try again

/* or masks to check for exit */
s_mov_b64 s[50:51], 0x0                            // empty mask
s_or_b64 s[50:51], s[54:55], s[50:51]              // or to add threads
s_or_b64 s[50:51], s[56:57], s[50:51]              // or to add threads
	;; [unrolled: 1-line block ×4, first 2 shown]
s_or_saveexec_b64 s[52:53], s[50:51]               // apply combined mask
s_cbranch_execz label_0118                         // if exec is zero skip loop

/* atomic CAS loop */
label_0117:

/* apply updated masks and issue writes again */
s_mov_b64 exec, s[54:55]                           // must try again
v_mov_b32 v10, v8                                  // dataV+2 = tmp (new original C)
v_mov_b32 v11, v9                                  // dataV+3 = tmp (new original C)
v_add_f64 v[8:9], v[10:11], v[vgprValuC+16:vgprValuC+16+1] // newC = rC + originalC
_buffer_atomic_cmpswap_b64 v[8:11], v6, s[sgprSrdD:sgprSrdD+3] 0 offen offset:0 glc   // attempt write
s_mov_b64 exec, s[56:57]                           // must try again
v_mov_b32 v14, v12                                 // dataV+2 = tmp (new original C)
v_mov_b32 v15, v13                                 // dataV+3 = tmp (new original C)
v_add_f64 v[12:13], v[14:15], v[vgprValuC+18:vgprValuC+18+1] // newC = rC + originalC
_buffer_atomic_cmpswap_b64 v[12:15], v6, s[sgprSrdD:sgprSrdD+3] 0 offen offset:8 glc   // attempt write
s_mov_b64 exec, s[58:59]                           // must try again
v_mov_b32 v26, v24                                 // dataV+2 = tmp (new original C)
v_mov_b32 v27, v25                                 // dataV+3 = tmp (new original C)
	;; [unrolled: 5-line block ×3, first 2 shown]
v_add_f64 v[28:29], v[30:31], v[vgprValuC+22:vgprValuC+22+1] // newC = rC + originalC
_buffer_atomic_cmpswap_b64 v[28:31], v7, s[sgprSrdD:sgprSrdD+3] 0 offen offset:8 glc   // attempt write
s_waitcnt vmcnt(0)                                 // wait for atomic writes

/* apply masks and check for success */
s_mov_b64 exec, s[54:55]                           // must try again
v_cmp_ne_u64 s[50:51], v[8:9], v[10:11]            // c read during atomic != c read during prior load
s_and_b64 s[54:55], s[50:51], s[54:55]             // inBounds & must try again
s_mov_b64 exec, s[56:57]                           // must try again
v_cmp_ne_u64 s[50:51], v[12:13], v[14:15]          // c read during atomic != c read during prior load
s_and_b64 s[56:57], s[50:51], s[56:57]             // inBounds & must try again
s_mov_b64 exec, s[58:59]                           // must try again
v_cmp_ne_u64 s[50:51], v[24:25], v[26:27]          // c read during atomic != c read during prior load
	;; [unrolled: 3-line block ×3, first 2 shown]
s_and_b64 s[60:61], s[50:51], s[60:61]             // inBounds & must try again

/* or masks to check for exit */
s_mov_b64 s[50:51], 0x0                            // empty mask
s_or_b64 s[50:51], s[54:55], s[50:51]              // or to add threads
s_or_b64 s[50:51], s[56:57], s[50:51]              // or to add threads
	;; [unrolled: 1-line block ×4, first 2 shown]
s_or_saveexec_b64 s[52:53], s[50:51]               // apply combined mask
s_cbranch_execnz label_0117                        // try again if not complete
label_0118:
s_mov_b64 exec, -1                                 // full mask -> exec
s_nop 0                                            // 1 wait state required when next inst writes vgprs held by previous dwordx4 store inst
/* optSingleColVgpr=0 optSharedColVgpr=0 optSGPRUsage=None optSrdIncForRow=0 */
s_sleep 1 // optimization: sync and wait
s_barrier

/******************************************/
/* Global Write Alpha Edge Batch #12 (d1,d0,vc1,vc0) = */
/*    (12,0,0,0:vw2:vaw:1); (12,1,0,0:vw2:vaw:1) */
/******************************************/

/* calc coords, apply mask, and issue loads (if necessary) */
/* (d1,vc1,d0,vc0)=(12,0,0,0) */
_v_add_co_u32 v1, vcc, v1, 4                       // coord1.1: coord1Vgpr += d1*sg1*VW + vc1

/* Fix for UseInitialStridesCD, emitAddressSetupCode */
s_mul_i32 s50, s[sgprStrideC1J], 4                 // scale stride
_v_add_u32 v2, v2, s50                             // ROWINC- Move cinRowPtr to next row
s_mul_i32 s50, s[sgprStrideD1J], 4                 // scale stride
_v_add_u32 v3, v3, s50                             // Move coutRowPtr to next row
v_cmp_lt_u32 s[50:51], v0, s[sgprSizeI]            // coord0 < size0
v_cmp_lt_u32 s[54:55], v1, s[sgprSizeJ]            // coord1 < size1
s_and_b64 s[54:55], s[50:51], s[54:55]             // in0 && in1
_v_add_lshl_u32 v6, v3, v0, 0x3                    // scaleToBpe: accumulate d0 lower and *= bpe into Cin addr
v_cndmask_b32 v6, -1, v6, s[54:55]                 // LDD clip if OOB. offset
_buffer_load_b128 v[12:15], v6, s[sgprSrdD:sgprSrdD+3], 0, offen offset:0 // load D (atomic) bpm=16 vaw=1
/* (d1,vc1,d0,vc0)=(12,0,1,0) */
s_mov_b32 s50, 128                                 // coordOffset0 d0=1 vc0=0
_v_add_co_u32 v4, vcc, v0, s50                     // coord0.2: coord0 += d0*sg0*VW + vc0
v_cmp_lt_u32 s[50:51], v4, s[sgprSizeI]            // coord0 < size0
v_cmp_lt_u32 s[58:59], v1, s[sgprSizeJ]            // coord1 < size1
s_and_b64 s[58:59], s[50:51], s[58:59]             // in0 && in1
_v_add_lshl_u32 v7, v3, v4, 0x3                    // scaleToBpe: accumulate d0 lower and *= bpe into Cin addr
v_cndmask_b32 v7, -1, v7, s[58:59]                 // LDD clip if OOB. offset
_buffer_load_b128 v[28:31], v7, s[sgprSrdD:sgprSrdD+3], 0, offen offset:0 // load D (atomic) bpm=16 vaw=1
v_accvgpr_read_b32 v[vgprValuC+16], acc96 // copy acc to vreg[96]
v_accvgpr_read_b32 v[vgprValuC+17], acc97 // copy acc to vreg[97]
v_accvgpr_read_b32 v[vgprValuC+18], acc104 // copy acc to vreg[98]
v_accvgpr_read_b32 v[vgprValuC+19], acc105 // copy acc to vreg[99]
v_accvgpr_read_b32 v[vgprValuC+20], acc112 // copy acc to vreg[100]
v_accvgpr_read_b32 v[vgprValuC+21], acc113 // copy acc to vreg[101]
v_accvgpr_read_b32 v[vgprValuC+22], acc120 // copy acc to vreg[102]
v_accvgpr_read_b32 v[vgprValuC+23], acc121 // copy acc to vreg[103]
s_nop 1                                            // 2 wait states required before reading vgpr

/* rC *= alpha batchElements=[(12, 0, 0, 0), (12, 1, 0, 0)] */
v_mul_f64 v[vgprValuC+16:vgprValuC+16+1], s[sgprAlpha:sgprAlpha+1], v[vgprValuC+16:vgprValuC+16+1] // *= alpha
v_mul_f64 v[vgprValuC+18:vgprValuC+18+1], s[sgprAlpha:sgprAlpha+1], v[vgprValuC+18:vgprValuC+18+1] // *= alpha
	;; [unrolled: 1-line block ×4, first 2 shown]
s_waitcnt vmcnt(0)                                 // wait C (atomic)

/* issue first atomic writes */
s_mov_b64 exec, s[54:55]                           // sgprs -> exec (before atomic)
v_mov_b32 v10, v12                                 // v_mov for reordering loaded data
v_mov_b32 v11, v13                                 // v_mov for reordering loaded data
v_add_f64 v[8:9], v[10:11], v[vgprValuC+16:vgprValuC+16+1] // desired value
_buffer_atomic_cmpswap_b64 v[8:11], v6, s[sgprSrdD:sgprSrdD+3] 0 offen offset:0 glc   // attempt write
v_add_f64 v[12:13], v[14:15], v[vgprValuC+18:vgprValuC+18+1] // desired value
_buffer_atomic_cmpswap_b64 v[12:15], v6, s[sgprSrdD:sgprSrdD+3] 0 offen offset:8 glc   // attempt write
s_mov_b64 exec, s[58:59]                           // sgprs -> exec (before atomic)
v_mov_b32 v26, v28                                 // v_mov for reordering loaded data
v_mov_b32 v27, v29                                 // v_mov for reordering loaded data
v_add_f64 v[24:25], v[26:27], v[vgprValuC+20:vgprValuC+20+1] // desired value
_buffer_atomic_cmpswap_b64 v[24:27], v7, s[sgprSrdD:sgprSrdD+3] 0 offen offset:0 glc   // attempt write
v_add_f64 v[28:29], v[30:31], v[vgprValuC+22:vgprValuC+22+1] // desired value
_buffer_atomic_cmpswap_b64 v[28:31], v7, s[sgprSrdD:sgprSrdD+3] 0 offen offset:8 glc   // attempt write
s_mov_b64 s[56:57], s[54:55]                       // copy out of range mask from the first one
s_mov_b64 s[60:61], s[58:59]                       // copy out of range mask from the first one
s_waitcnt vmcnt(0)                                 // wait for atomic writes

/* check success of writes, update masks */
s_mov_b64 exec, s[54:55]                           // sgprs -> exec
v_cmp_ne_u64 s[50:51], v[8:9], v[10:11]            // c read during atomic != c read during prior load
s_and_b64 s[54:55], s[50:51], s[54:55]             // inBounds & must try again
s_mov_b64 exec, s[56:57]                           // sgprs -> exec
v_cmp_ne_u64 s[50:51], v[12:13], v[14:15]          // c read during atomic != c read during prior load
s_and_b64 s[56:57], s[50:51], s[56:57]             // inBounds & must try again
s_mov_b64 exec, s[58:59]                           // sgprs -> exec
v_cmp_ne_u64 s[50:51], v[24:25], v[26:27]          // c read during atomic != c read during prior load
	;; [unrolled: 3-line block ×3, first 2 shown]
s_and_b64 s[60:61], s[50:51], s[60:61]             // inBounds & must try again

/* or masks to check for exit */
s_mov_b64 s[50:51], 0x0                            // empty mask
s_or_b64 s[50:51], s[54:55], s[50:51]              // or to add threads
s_or_b64 s[50:51], s[56:57], s[50:51]              // or to add threads
	;; [unrolled: 1-line block ×4, first 2 shown]
s_or_saveexec_b64 s[52:53], s[50:51]               // apply combined mask
s_cbranch_execz label_0120                         // if exec is zero skip loop

/* atomic CAS loop */
label_0119:

/* apply updated masks and issue writes again */
s_mov_b64 exec, s[54:55]                           // must try again
v_mov_b32 v10, v8                                  // dataV+2 = tmp (new original C)
v_mov_b32 v11, v9                                  // dataV+3 = tmp (new original C)
v_add_f64 v[8:9], v[10:11], v[vgprValuC+16:vgprValuC+16+1] // newC = rC + originalC
_buffer_atomic_cmpswap_b64 v[8:11], v6, s[sgprSrdD:sgprSrdD+3] 0 offen offset:0 glc   // attempt write
s_mov_b64 exec, s[56:57]                           // must try again
v_mov_b32 v14, v12                                 // dataV+2 = tmp (new original C)
v_mov_b32 v15, v13                                 // dataV+3 = tmp (new original C)
v_add_f64 v[12:13], v[14:15], v[vgprValuC+18:vgprValuC+18+1] // newC = rC + originalC
_buffer_atomic_cmpswap_b64 v[12:15], v6, s[sgprSrdD:sgprSrdD+3] 0 offen offset:8 glc   // attempt write
s_mov_b64 exec, s[58:59]                           // must try again
v_mov_b32 v26, v24                                 // dataV+2 = tmp (new original C)
v_mov_b32 v27, v25                                 // dataV+3 = tmp (new original C)
	;; [unrolled: 5-line block ×3, first 2 shown]
v_add_f64 v[28:29], v[30:31], v[vgprValuC+22:vgprValuC+22+1] // newC = rC + originalC
_buffer_atomic_cmpswap_b64 v[28:31], v7, s[sgprSrdD:sgprSrdD+3] 0 offen offset:8 glc   // attempt write
s_waitcnt vmcnt(0)                                 // wait for atomic writes

/* apply masks and check for success */
s_mov_b64 exec, s[54:55]                           // must try again
v_cmp_ne_u64 s[50:51], v[8:9], v[10:11]            // c read during atomic != c read during prior load
s_and_b64 s[54:55], s[50:51], s[54:55]             // inBounds & must try again
s_mov_b64 exec, s[56:57]                           // must try again
v_cmp_ne_u64 s[50:51], v[12:13], v[14:15]          // c read during atomic != c read during prior load
s_and_b64 s[56:57], s[50:51], s[56:57]             // inBounds & must try again
s_mov_b64 exec, s[58:59]                           // must try again
v_cmp_ne_u64 s[50:51], v[24:25], v[26:27]          // c read during atomic != c read during prior load
	;; [unrolled: 3-line block ×3, first 2 shown]
s_and_b64 s[60:61], s[50:51], s[60:61]             // inBounds & must try again

/* or masks to check for exit */
s_mov_b64 s[50:51], 0x0                            // empty mask
s_or_b64 s[50:51], s[54:55], s[50:51]              // or to add threads
s_or_b64 s[50:51], s[56:57], s[50:51]              // or to add threads
	;; [unrolled: 1-line block ×4, first 2 shown]
s_or_saveexec_b64 s[52:53], s[50:51]               // apply combined mask
s_cbranch_execnz label_0119                        // try again if not complete
label_0120:
s_mov_b64 exec, -1                                 // full mask -> exec
s_nop 0                                            // 1 wait state required when next inst writes vgprs held by previous dwordx4 store inst
/* optSingleColVgpr=0 optSharedColVgpr=0 optSGPRUsage=None optSrdIncForRow=0 */
s_sleep 1 // optimization: sync and wait
s_barrier

/******************************************/
/* Global Write Alpha Edge Batch #13 (d1,d0,vc1,vc0) = */
/*    (13,0,0,0:vw2:vaw:1); (13,1,0,0:vw2:vaw:1) */
/******************************************/

/* calc coords, apply mask, and issue loads (if necessary) */
/* (d1,vc1,d0,vc0)=(13,0,0,0) */
_v_add_co_u32 v1, vcc, v1, 4                       // coord1.1: coord1Vgpr += d1*sg1*VW + vc1

/* Fix for UseInitialStridesCD, emitAddressSetupCode */
s_mul_i32 s50, s[sgprStrideC1J], 4                 // scale stride
_v_add_u32 v2, v2, s50                             // ROWINC- Move cinRowPtr to next row
s_mul_i32 s50, s[sgprStrideD1J], 4                 // scale stride
_v_add_u32 v3, v3, s50                             // Move coutRowPtr to next row
v_cmp_lt_u32 s[50:51], v0, s[sgprSizeI]            // coord0 < size0
v_cmp_lt_u32 s[54:55], v1, s[sgprSizeJ]            // coord1 < size1
s_and_b64 s[54:55], s[50:51], s[54:55]             // in0 && in1
_v_add_lshl_u32 v6, v3, v0, 0x3                    // scaleToBpe: accumulate d0 lower and *= bpe into Cin addr
v_cndmask_b32 v6, -1, v6, s[54:55]                 // LDD clip if OOB. offset
_buffer_load_b128 v[12:15], v6, s[sgprSrdD:sgprSrdD+3], 0, offen offset:0 // load D (atomic) bpm=16 vaw=1
/* (d1,vc1,d0,vc0)=(13,0,1,0) */
s_mov_b32 s50, 128                                 // coordOffset0 d0=1 vc0=0
_v_add_co_u32 v4, vcc, v0, s50                     // coord0.2: coord0 += d0*sg0*VW + vc0
v_cmp_lt_u32 s[50:51], v4, s[sgprSizeI]            // coord0 < size0
v_cmp_lt_u32 s[58:59], v1, s[sgprSizeJ]            // coord1 < size1
s_and_b64 s[58:59], s[50:51], s[58:59]             // in0 && in1
_v_add_lshl_u32 v7, v3, v4, 0x3                    // scaleToBpe: accumulate d0 lower and *= bpe into Cin addr
v_cndmask_b32 v7, -1, v7, s[58:59]                 // LDD clip if OOB. offset
_buffer_load_b128 v[28:31], v7, s[sgprSrdD:sgprSrdD+3], 0, offen offset:0 // load D (atomic) bpm=16 vaw=1
v_accvgpr_read_b32 v[vgprValuC+16], acc98 // copy acc to vreg[104]
v_accvgpr_read_b32 v[vgprValuC+17], acc99 // copy acc to vreg[105]
v_accvgpr_read_b32 v[vgprValuC+18], acc106 // copy acc to vreg[106]
v_accvgpr_read_b32 v[vgprValuC+19], acc107 // copy acc to vreg[107]
v_accvgpr_read_b32 v[vgprValuC+20], acc114 // copy acc to vreg[108]
v_accvgpr_read_b32 v[vgprValuC+21], acc115 // copy acc to vreg[109]
v_accvgpr_read_b32 v[vgprValuC+22], acc122 // copy acc to vreg[110]
v_accvgpr_read_b32 v[vgprValuC+23], acc123 // copy acc to vreg[111]
s_nop 1                                            // 2 wait states required before reading vgpr

/* rC *= alpha batchElements=[(13, 0, 0, 0), (13, 1, 0, 0)] */
v_mul_f64 v[vgprValuC+16:vgprValuC+16+1], s[sgprAlpha:sgprAlpha+1], v[vgprValuC+16:vgprValuC+16+1] // *= alpha
v_mul_f64 v[vgprValuC+18:vgprValuC+18+1], s[sgprAlpha:sgprAlpha+1], v[vgprValuC+18:vgprValuC+18+1] // *= alpha
	;; [unrolled: 1-line block ×4, first 2 shown]
s_waitcnt vmcnt(0)                                 // wait C (atomic)

/* issue first atomic writes */
s_mov_b64 exec, s[54:55]                           // sgprs -> exec (before atomic)
v_mov_b32 v10, v12                                 // v_mov for reordering loaded data
v_mov_b32 v11, v13                                 // v_mov for reordering loaded data
v_add_f64 v[8:9], v[10:11], v[vgprValuC+16:vgprValuC+16+1] // desired value
_buffer_atomic_cmpswap_b64 v[8:11], v6, s[sgprSrdD:sgprSrdD+3] 0 offen offset:0 glc   // attempt write
v_add_f64 v[12:13], v[14:15], v[vgprValuC+18:vgprValuC+18+1] // desired value
_buffer_atomic_cmpswap_b64 v[12:15], v6, s[sgprSrdD:sgprSrdD+3] 0 offen offset:8 glc   // attempt write
s_mov_b64 exec, s[58:59]                           // sgprs -> exec (before atomic)
v_mov_b32 v26, v28                                 // v_mov for reordering loaded data
v_mov_b32 v27, v29                                 // v_mov for reordering loaded data
v_add_f64 v[24:25], v[26:27], v[vgprValuC+20:vgprValuC+20+1] // desired value
_buffer_atomic_cmpswap_b64 v[24:27], v7, s[sgprSrdD:sgprSrdD+3] 0 offen offset:0 glc   // attempt write
v_add_f64 v[28:29], v[30:31], v[vgprValuC+22:vgprValuC+22+1] // desired value
_buffer_atomic_cmpswap_b64 v[28:31], v7, s[sgprSrdD:sgprSrdD+3] 0 offen offset:8 glc   // attempt write
s_mov_b64 s[56:57], s[54:55]                       // copy out of range mask from the first one
s_mov_b64 s[60:61], s[58:59]                       // copy out of range mask from the first one
s_waitcnt vmcnt(0)                                 // wait for atomic writes

/* check success of writes, update masks */
s_mov_b64 exec, s[54:55]                           // sgprs -> exec
v_cmp_ne_u64 s[50:51], v[8:9], v[10:11]            // c read during atomic != c read during prior load
s_and_b64 s[54:55], s[50:51], s[54:55]             // inBounds & must try again
s_mov_b64 exec, s[56:57]                           // sgprs -> exec
v_cmp_ne_u64 s[50:51], v[12:13], v[14:15]          // c read during atomic != c read during prior load
s_and_b64 s[56:57], s[50:51], s[56:57]             // inBounds & must try again
s_mov_b64 exec, s[58:59]                           // sgprs -> exec
v_cmp_ne_u64 s[50:51], v[24:25], v[26:27]          // c read during atomic != c read during prior load
	;; [unrolled: 3-line block ×3, first 2 shown]
s_and_b64 s[60:61], s[50:51], s[60:61]             // inBounds & must try again

/* or masks to check for exit */
s_mov_b64 s[50:51], 0x0                            // empty mask
s_or_b64 s[50:51], s[54:55], s[50:51]              // or to add threads
s_or_b64 s[50:51], s[56:57], s[50:51]              // or to add threads
	;; [unrolled: 1-line block ×4, first 2 shown]
s_or_saveexec_b64 s[52:53], s[50:51]               // apply combined mask
s_cbranch_execz label_0122                         // if exec is zero skip loop

/* atomic CAS loop */
label_0121:

/* apply updated masks and issue writes again */
s_mov_b64 exec, s[54:55]                           // must try again
v_mov_b32 v10, v8                                  // dataV+2 = tmp (new original C)
v_mov_b32 v11, v9                                  // dataV+3 = tmp (new original C)
v_add_f64 v[8:9], v[10:11], v[vgprValuC+16:vgprValuC+16+1] // newC = rC + originalC
_buffer_atomic_cmpswap_b64 v[8:11], v6, s[sgprSrdD:sgprSrdD+3] 0 offen offset:0 glc   // attempt write
s_mov_b64 exec, s[56:57]                           // must try again
v_mov_b32 v14, v12                                 // dataV+2 = tmp (new original C)
v_mov_b32 v15, v13                                 // dataV+3 = tmp (new original C)
v_add_f64 v[12:13], v[14:15], v[vgprValuC+18:vgprValuC+18+1] // newC = rC + originalC
_buffer_atomic_cmpswap_b64 v[12:15], v6, s[sgprSrdD:sgprSrdD+3] 0 offen offset:8 glc   // attempt write
s_mov_b64 exec, s[58:59]                           // must try again
v_mov_b32 v26, v24                                 // dataV+2 = tmp (new original C)
v_mov_b32 v27, v25                                 // dataV+3 = tmp (new original C)
v_add_f64 v[24:25], v[26:27], v[vgprValuC+20:vgprValuC+20+1] // newC = rC + originalC
_buffer_atomic_cmpswap_b64 v[24:27], v7, s[sgprSrdD:sgprSrdD+3] 0 offen offset:0 glc   // attempt write
s_mov_b64 exec, s[60:61]                           // must try again
v_mov_b32 v30, v28                                 // dataV+2 = tmp (new original C)
v_mov_b32 v31, v29                                 // dataV+3 = tmp (new original C)
v_add_f64 v[28:29], v[30:31], v[vgprValuC+22:vgprValuC+22+1] // newC = rC + originalC
_buffer_atomic_cmpswap_b64 v[28:31], v7, s[sgprSrdD:sgprSrdD+3] 0 offen offset:8 glc   // attempt write
s_waitcnt vmcnt(0)                                 // wait for atomic writes

/* apply masks and check for success */
s_mov_b64 exec, s[54:55]                           // must try again
v_cmp_ne_u64 s[50:51], v[8:9], v[10:11]            // c read during atomic != c read during prior load
s_and_b64 s[54:55], s[50:51], s[54:55]             // inBounds & must try again
s_mov_b64 exec, s[56:57]                           // must try again
v_cmp_ne_u64 s[50:51], v[12:13], v[14:15]          // c read during atomic != c read during prior load
s_and_b64 s[56:57], s[50:51], s[56:57]             // inBounds & must try again
s_mov_b64 exec, s[58:59]                           // must try again
v_cmp_ne_u64 s[50:51], v[24:25], v[26:27]          // c read during atomic != c read during prior load
	;; [unrolled: 3-line block ×3, first 2 shown]
s_and_b64 s[60:61], s[50:51], s[60:61]             // inBounds & must try again

/* or masks to check for exit */
s_mov_b64 s[50:51], 0x0                            // empty mask
s_or_b64 s[50:51], s[54:55], s[50:51]              // or to add threads
s_or_b64 s[50:51], s[56:57], s[50:51]              // or to add threads
	;; [unrolled: 1-line block ×4, first 2 shown]
s_or_saveexec_b64 s[52:53], s[50:51]               // apply combined mask
s_cbranch_execnz label_0121                        // try again if not complete
label_0122:
s_mov_b64 exec, -1                                 // full mask -> exec
s_nop 0                                            // 1 wait state required when next inst writes vgprs held by previous dwordx4 store inst
/* optSingleColVgpr=0 optSharedColVgpr=0 optSGPRUsage=None optSrdIncForRow=0 */
s_sleep 1 // optimization: sync and wait
s_barrier

/******************************************/
/* Global Write Alpha Edge Batch #14 (d1,d0,vc1,vc0) = */
/*    (14,0,0,0:vw2:vaw:1); (14,1,0,0:vw2:vaw:1) */
/******************************************/

/* calc coords, apply mask, and issue loads (if necessary) */
/* (d1,vc1,d0,vc0)=(14,0,0,0) */
_v_add_co_u32 v1, vcc, v1, 4                       // coord1.1: coord1Vgpr += d1*sg1*VW + vc1

/* Fix for UseInitialStridesCD, emitAddressSetupCode */
s_mul_i32 s50, s[sgprStrideC1J], 4                 // scale stride
_v_add_u32 v2, v2, s50                             // ROWINC- Move cinRowPtr to next row
s_mul_i32 s50, s[sgprStrideD1J], 4                 // scale stride
_v_add_u32 v3, v3, s50                             // Move coutRowPtr to next row
v_cmp_lt_u32 s[50:51], v0, s[sgprSizeI]            // coord0 < size0
v_cmp_lt_u32 s[54:55], v1, s[sgprSizeJ]            // coord1 < size1
s_and_b64 s[54:55], s[50:51], s[54:55]             // in0 && in1
_v_add_lshl_u32 v6, v3, v0, 0x3                    // scaleToBpe: accumulate d0 lower and *= bpe into Cin addr
v_cndmask_b32 v6, -1, v6, s[54:55]                 // LDD clip if OOB. offset
_buffer_load_b128 v[12:15], v6, s[sgprSrdD:sgprSrdD+3], 0, offen offset:0 // load D (atomic) bpm=16 vaw=1
/* (d1,vc1,d0,vc0)=(14,0,1,0) */
s_mov_b32 s50, 128                                 // coordOffset0 d0=1 vc0=0
_v_add_co_u32 v4, vcc, v0, s50                     // coord0.2: coord0 += d0*sg0*VW + vc0
v_cmp_lt_u32 s[50:51], v4, s[sgprSizeI]            // coord0 < size0
v_cmp_lt_u32 s[58:59], v1, s[sgprSizeJ]            // coord1 < size1
s_and_b64 s[58:59], s[50:51], s[58:59]             // in0 && in1
_v_add_lshl_u32 v7, v3, v4, 0x3                    // scaleToBpe: accumulate d0 lower and *= bpe into Cin addr
v_cndmask_b32 v7, -1, v7, s[58:59]                 // LDD clip if OOB. offset
_buffer_load_b128 v[28:31], v7, s[sgprSrdD:sgprSrdD+3], 0, offen offset:0 // load D (atomic) bpm=16 vaw=1
v_accvgpr_read_b32 v[vgprValuC+16], acc100 // copy acc to vreg[112]
v_accvgpr_read_b32 v[vgprValuC+17], acc101 // copy acc to vreg[113]
v_accvgpr_read_b32 v[vgprValuC+18], acc108 // copy acc to vreg[114]
v_accvgpr_read_b32 v[vgprValuC+19], acc109 // copy acc to vreg[115]
v_accvgpr_read_b32 v[vgprValuC+20], acc116 // copy acc to vreg[116]
v_accvgpr_read_b32 v[vgprValuC+21], acc117 // copy acc to vreg[117]
v_accvgpr_read_b32 v[vgprValuC+22], acc124 // copy acc to vreg[118]
v_accvgpr_read_b32 v[vgprValuC+23], acc125 // copy acc to vreg[119]
s_nop 1                                            // 2 wait states required before reading vgpr

/* rC *= alpha batchElements=[(14, 0, 0, 0), (14, 1, 0, 0)] */
v_mul_f64 v[vgprValuC+16:vgprValuC+16+1], s[sgprAlpha:sgprAlpha+1], v[vgprValuC+16:vgprValuC+16+1] // *= alpha
v_mul_f64 v[vgprValuC+18:vgprValuC+18+1], s[sgprAlpha:sgprAlpha+1], v[vgprValuC+18:vgprValuC+18+1] // *= alpha
	;; [unrolled: 1-line block ×4, first 2 shown]
s_waitcnt vmcnt(0)                                 // wait C (atomic)

/* issue first atomic writes */
s_mov_b64 exec, s[54:55]                           // sgprs -> exec (before atomic)
v_mov_b32 v10, v12                                 // v_mov for reordering loaded data
v_mov_b32 v11, v13                                 // v_mov for reordering loaded data
v_add_f64 v[8:9], v[10:11], v[vgprValuC+16:vgprValuC+16+1] // desired value
_buffer_atomic_cmpswap_b64 v[8:11], v6, s[sgprSrdD:sgprSrdD+3] 0 offen offset:0 glc   // attempt write
v_add_f64 v[12:13], v[14:15], v[vgprValuC+18:vgprValuC+18+1] // desired value
_buffer_atomic_cmpswap_b64 v[12:15], v6, s[sgprSrdD:sgprSrdD+3] 0 offen offset:8 glc   // attempt write
s_mov_b64 exec, s[58:59]                           // sgprs -> exec (before atomic)
v_mov_b32 v26, v28                                 // v_mov for reordering loaded data
v_mov_b32 v27, v29                                 // v_mov for reordering loaded data
v_add_f64 v[24:25], v[26:27], v[vgprValuC+20:vgprValuC+20+1] // desired value
_buffer_atomic_cmpswap_b64 v[24:27], v7, s[sgprSrdD:sgprSrdD+3] 0 offen offset:0 glc   // attempt write
v_add_f64 v[28:29], v[30:31], v[vgprValuC+22:vgprValuC+22+1] // desired value
_buffer_atomic_cmpswap_b64 v[28:31], v7, s[sgprSrdD:sgprSrdD+3] 0 offen offset:8 glc   // attempt write
s_mov_b64 s[56:57], s[54:55]                       // copy out of range mask from the first one
s_mov_b64 s[60:61], s[58:59]                       // copy out of range mask from the first one
s_waitcnt vmcnt(0)                                 // wait for atomic writes

/* check success of writes, update masks */
s_mov_b64 exec, s[54:55]                           // sgprs -> exec
v_cmp_ne_u64 s[50:51], v[8:9], v[10:11]            // c read during atomic != c read during prior load
s_and_b64 s[54:55], s[50:51], s[54:55]             // inBounds & must try again
s_mov_b64 exec, s[56:57]                           // sgprs -> exec
v_cmp_ne_u64 s[50:51], v[12:13], v[14:15]          // c read during atomic != c read during prior load
s_and_b64 s[56:57], s[50:51], s[56:57]             // inBounds & must try again
s_mov_b64 exec, s[58:59]                           // sgprs -> exec
v_cmp_ne_u64 s[50:51], v[24:25], v[26:27]          // c read during atomic != c read during prior load
	;; [unrolled: 3-line block ×3, first 2 shown]
s_and_b64 s[60:61], s[50:51], s[60:61]             // inBounds & must try again

/* or masks to check for exit */
s_mov_b64 s[50:51], 0x0                            // empty mask
s_or_b64 s[50:51], s[54:55], s[50:51]              // or to add threads
s_or_b64 s[50:51], s[56:57], s[50:51]              // or to add threads
	;; [unrolled: 1-line block ×4, first 2 shown]
s_or_saveexec_b64 s[52:53], s[50:51]               // apply combined mask
s_cbranch_execz label_0124                         // if exec is zero skip loop

/* atomic CAS loop */
label_0123:

/* apply updated masks and issue writes again */
s_mov_b64 exec, s[54:55]                           // must try again
v_mov_b32 v10, v8                                  // dataV+2 = tmp (new original C)
v_mov_b32 v11, v9                                  // dataV+3 = tmp (new original C)
v_add_f64 v[8:9], v[10:11], v[vgprValuC+16:vgprValuC+16+1] // newC = rC + originalC
_buffer_atomic_cmpswap_b64 v[8:11], v6, s[sgprSrdD:sgprSrdD+3] 0 offen offset:0 glc   // attempt write
s_mov_b64 exec, s[56:57]                           // must try again
v_mov_b32 v14, v12                                 // dataV+2 = tmp (new original C)
v_mov_b32 v15, v13                                 // dataV+3 = tmp (new original C)
v_add_f64 v[12:13], v[14:15], v[vgprValuC+18:vgprValuC+18+1] // newC = rC + originalC
_buffer_atomic_cmpswap_b64 v[12:15], v6, s[sgprSrdD:sgprSrdD+3] 0 offen offset:8 glc   // attempt write
s_mov_b64 exec, s[58:59]                           // must try again
v_mov_b32 v26, v24                                 // dataV+2 = tmp (new original C)
v_mov_b32 v27, v25                                 // dataV+3 = tmp (new original C)
	;; [unrolled: 5-line block ×3, first 2 shown]
v_add_f64 v[28:29], v[30:31], v[vgprValuC+22:vgprValuC+22+1] // newC = rC + originalC
_buffer_atomic_cmpswap_b64 v[28:31], v7, s[sgprSrdD:sgprSrdD+3] 0 offen offset:8 glc   // attempt write
s_waitcnt vmcnt(0)                                 // wait for atomic writes

/* apply masks and check for success */
s_mov_b64 exec, s[54:55]                           // must try again
v_cmp_ne_u64 s[50:51], v[8:9], v[10:11]            // c read during atomic != c read during prior load
s_and_b64 s[54:55], s[50:51], s[54:55]             // inBounds & must try again
s_mov_b64 exec, s[56:57]                           // must try again
v_cmp_ne_u64 s[50:51], v[12:13], v[14:15]          // c read during atomic != c read during prior load
s_and_b64 s[56:57], s[50:51], s[56:57]             // inBounds & must try again
s_mov_b64 exec, s[58:59]                           // must try again
v_cmp_ne_u64 s[50:51], v[24:25], v[26:27]          // c read during atomic != c read during prior load
	;; [unrolled: 3-line block ×3, first 2 shown]
s_and_b64 s[60:61], s[50:51], s[60:61]             // inBounds & must try again

/* or masks to check for exit */
s_mov_b64 s[50:51], 0x0                            // empty mask
s_or_b64 s[50:51], s[54:55], s[50:51]              // or to add threads
s_or_b64 s[50:51], s[56:57], s[50:51]              // or to add threads
	;; [unrolled: 1-line block ×4, first 2 shown]
s_or_saveexec_b64 s[52:53], s[50:51]               // apply combined mask
s_cbranch_execnz label_0123                        // try again if not complete
label_0124:
s_mov_b64 exec, -1                                 // full mask -> exec
s_nop 0                                            // 1 wait state required when next inst writes vgprs held by previous dwordx4 store inst
/* optSingleColVgpr=0 optSharedColVgpr=0 optSGPRUsage=None optSrdIncForRow=0 */
s_sleep 1 // optimization: sync and wait
s_barrier

/******************************************/
/* Global Write Alpha Edge Batch #15 (d1,d0,vc1,vc0) = */
/*    (15,0,0,0:vw2:vaw:1); (15,1,0,0:vw2:vaw:1) */
/******************************************/

/* calc coords, apply mask, and issue loads (if necessary) */
/* (d1,vc1,d0,vc0)=(15,0,0,0) */
_v_add_co_u32 v1, vcc, v1, 4                       // coord1.1: coord1Vgpr += d1*sg1*VW + vc1

/* Fix for UseInitialStridesCD, emitAddressSetupCode */
s_mul_i32 s50, s[sgprStrideC1J], 4                 // scale stride
_v_add_u32 v2, v2, s50                             // ROWINC- Move cinRowPtr to next row
s_mul_i32 s50, s[sgprStrideD1J], 4                 // scale stride
_v_add_u32 v3, v3, s50                             // Move coutRowPtr to next row
v_cmp_lt_u32 s[50:51], v0, s[sgprSizeI]            // coord0 < size0
v_cmp_lt_u32 s[54:55], v1, s[sgprSizeJ]            // coord1 < size1
s_and_b64 s[54:55], s[50:51], s[54:55]             // in0 && in1
_v_add_lshl_u32 v6, v3, v0, 0x3                    // scaleToBpe: accumulate d0 lower and *= bpe into Cin addr
v_cndmask_b32 v6, -1, v6, s[54:55]                 // LDD clip if OOB. offset
_buffer_load_b128 v[12:15], v6, s[sgprSrdD:sgprSrdD+3], 0, offen offset:0 // load D (atomic) bpm=16 vaw=1
/* (d1,vc1,d0,vc0)=(15,0,1,0) */
s_mov_b32 s50, 128                                 // coordOffset0 d0=1 vc0=0
_v_add_co_u32 v4, vcc, v0, s50                     // coord0.2: coord0 += d0*sg0*VW + vc0
v_cmp_lt_u32 s[50:51], v4, s[sgprSizeI]            // coord0 < size0
v_cmp_lt_u32 s[58:59], v1, s[sgprSizeJ]            // coord1 < size1
s_and_b64 s[58:59], s[50:51], s[58:59]             // in0 && in1
_v_add_lshl_u32 v7, v3, v4, 0x3                    // scaleToBpe: accumulate d0 lower and *= bpe into Cin addr
v_cndmask_b32 v7, -1, v7, s[58:59]                 // LDD clip if OOB. offset
_buffer_load_b128 v[28:31], v7, s[sgprSrdD:sgprSrdD+3], 0, offen offset:0 // load D (atomic) bpm=16 vaw=1
v_accvgpr_read_b32 v[vgprValuC+16], acc102 // copy acc to vreg[120]
v_accvgpr_read_b32 v[vgprValuC+17], acc103 // copy acc to vreg[121]
v_accvgpr_read_b32 v[vgprValuC+18], acc110 // copy acc to vreg[122]
v_accvgpr_read_b32 v[vgprValuC+19], acc111 // copy acc to vreg[123]
v_accvgpr_read_b32 v[vgprValuC+20], acc118 // copy acc to vreg[124]
v_accvgpr_read_b32 v[vgprValuC+21], acc119 // copy acc to vreg[125]
v_accvgpr_read_b32 v[vgprValuC+22], acc126 // copy acc to vreg[126]
v_accvgpr_read_b32 v[vgprValuC+23], acc127 // copy acc to vreg[127]
s_nop 1                                            // 2 wait states required before reading vgpr

/* rC *= alpha batchElements=[(15, 0, 0, 0), (15, 1, 0, 0)] */
v_mul_f64 v[vgprValuC+16:vgprValuC+16+1], s[sgprAlpha:sgprAlpha+1], v[vgprValuC+16:vgprValuC+16+1] // *= alpha
v_mul_f64 v[vgprValuC+18:vgprValuC+18+1], s[sgprAlpha:sgprAlpha+1], v[vgprValuC+18:vgprValuC+18+1] // *= alpha
v_mul_f64 v[vgprValuC+20:vgprValuC+20+1], s[sgprAlpha:sgprAlpha+1], v[vgprValuC+20:vgprValuC+20+1] // *= alpha
v_mul_f64 v[vgprValuC+22:vgprValuC+22+1], s[sgprAlpha:sgprAlpha+1], v[vgprValuC+22:vgprValuC+22+1] // *= alpha
s_waitcnt vmcnt(0)                                 // wait C (atomic)

/* issue first atomic writes */
s_mov_b64 exec, s[54:55]                           // sgprs -> exec (before atomic)
v_mov_b32 v10, v12                                 // v_mov for reordering loaded data
v_mov_b32 v11, v13                                 // v_mov for reordering loaded data
v_add_f64 v[8:9], v[10:11], v[vgprValuC+16:vgprValuC+16+1] // desired value
_buffer_atomic_cmpswap_b64 v[8:11], v6, s[sgprSrdD:sgprSrdD+3] 0 offen offset:0 glc   // attempt write
v_add_f64 v[12:13], v[14:15], v[vgprValuC+18:vgprValuC+18+1] // desired value
_buffer_atomic_cmpswap_b64 v[12:15], v6, s[sgprSrdD:sgprSrdD+3] 0 offen offset:8 glc   // attempt write
s_mov_b64 exec, s[58:59]                           // sgprs -> exec (before atomic)
v_mov_b32 v26, v28                                 // v_mov for reordering loaded data
v_mov_b32 v27, v29                                 // v_mov for reordering loaded data
v_add_f64 v[24:25], v[26:27], v[vgprValuC+20:vgprValuC+20+1] // desired value
_buffer_atomic_cmpswap_b64 v[24:27], v7, s[sgprSrdD:sgprSrdD+3] 0 offen offset:0 glc   // attempt write
v_add_f64 v[28:29], v[30:31], v[vgprValuC+22:vgprValuC+22+1] // desired value
_buffer_atomic_cmpswap_b64 v[28:31], v7, s[sgprSrdD:sgprSrdD+3] 0 offen offset:8 glc   // attempt write
s_mov_b64 s[56:57], s[54:55]                       // copy out of range mask from the first one
s_mov_b64 s[60:61], s[58:59]                       // copy out of range mask from the first one
s_waitcnt vmcnt(0)                                 // wait for atomic writes

/* check success of writes, update masks */
s_mov_b64 exec, s[54:55]                           // sgprs -> exec
v_cmp_ne_u64 s[50:51], v[8:9], v[10:11]            // c read during atomic != c read during prior load
s_and_b64 s[54:55], s[50:51], s[54:55]             // inBounds & must try again
s_mov_b64 exec, s[56:57]                           // sgprs -> exec
v_cmp_ne_u64 s[50:51], v[12:13], v[14:15]          // c read during atomic != c read during prior load
s_and_b64 s[56:57], s[50:51], s[56:57]             // inBounds & must try again
s_mov_b64 exec, s[58:59]                           // sgprs -> exec
v_cmp_ne_u64 s[50:51], v[24:25], v[26:27]          // c read during atomic != c read during prior load
	;; [unrolled: 3-line block ×3, first 2 shown]
s_and_b64 s[60:61], s[50:51], s[60:61]             // inBounds & must try again

/* or masks to check for exit */
s_mov_b64 s[50:51], 0x0                            // empty mask
s_or_b64 s[50:51], s[54:55], s[50:51]              // or to add threads
s_or_b64 s[50:51], s[56:57], s[50:51]              // or to add threads
	;; [unrolled: 1-line block ×4, first 2 shown]
s_or_saveexec_b64 s[52:53], s[50:51]               // apply combined mask
s_cbranch_execz label_0126                         // if exec is zero skip loop

/* atomic CAS loop */
label_0125:

/* apply updated masks and issue writes again */
s_mov_b64 exec, s[54:55]                           // must try again
v_mov_b32 v10, v8                                  // dataV+2 = tmp (new original C)
v_mov_b32 v11, v9                                  // dataV+3 = tmp (new original C)
v_add_f64 v[8:9], v[10:11], v[vgprValuC+16:vgprValuC+16+1] // newC = rC + originalC
_buffer_atomic_cmpswap_b64 v[8:11], v6, s[sgprSrdD:sgprSrdD+3] 0 offen offset:0 glc   // attempt write
s_mov_b64 exec, s[56:57]                           // must try again
v_mov_b32 v14, v12                                 // dataV+2 = tmp (new original C)
v_mov_b32 v15, v13                                 // dataV+3 = tmp (new original C)
v_add_f64 v[12:13], v[14:15], v[vgprValuC+18:vgprValuC+18+1] // newC = rC + originalC
_buffer_atomic_cmpswap_b64 v[12:15], v6, s[sgprSrdD:sgprSrdD+3] 0 offen offset:8 glc   // attempt write
s_mov_b64 exec, s[58:59]                           // must try again
v_mov_b32 v26, v24                                 // dataV+2 = tmp (new original C)
v_mov_b32 v27, v25                                 // dataV+3 = tmp (new original C)
v_add_f64 v[24:25], v[26:27], v[vgprValuC+20:vgprValuC+20+1] // newC = rC + originalC
_buffer_atomic_cmpswap_b64 v[24:27], v7, s[sgprSrdD:sgprSrdD+3] 0 offen offset:0 glc   // attempt write
s_mov_b64 exec, s[60:61]                           // must try again
v_mov_b32 v30, v28                                 // dataV+2 = tmp (new original C)
v_mov_b32 v31, v29                                 // dataV+3 = tmp (new original C)
v_add_f64 v[28:29], v[30:31], v[vgprValuC+22:vgprValuC+22+1] // newC = rC + originalC
_buffer_atomic_cmpswap_b64 v[28:31], v7, s[sgprSrdD:sgprSrdD+3] 0 offen offset:8 glc   // attempt write
s_waitcnt vmcnt(0)                                 // wait for atomic writes

/* apply masks and check for success */
s_mov_b64 exec, s[54:55]                           // must try again
v_cmp_ne_u64 s[50:51], v[8:9], v[10:11]            // c read during atomic != c read during prior load
s_and_b64 s[54:55], s[50:51], s[54:55]             // inBounds & must try again
s_mov_b64 exec, s[56:57]                           // must try again
v_cmp_ne_u64 s[50:51], v[12:13], v[14:15]          // c read during atomic != c read during prior load
s_and_b64 s[56:57], s[50:51], s[56:57]             // inBounds & must try again
s_mov_b64 exec, s[58:59]                           // must try again
v_cmp_ne_u64 s[50:51], v[24:25], v[26:27]          // c read during atomic != c read during prior load
	;; [unrolled: 3-line block ×3, first 2 shown]
s_and_b64 s[60:61], s[50:51], s[60:61]             // inBounds & must try again

/* or masks to check for exit */
s_mov_b64 s[50:51], 0x0                            // empty mask
s_or_b64 s[50:51], s[54:55], s[50:51]              // or to add threads
s_or_b64 s[50:51], s[56:57], s[50:51]              // or to add threads
	;; [unrolled: 1-line block ×4, first 2 shown]
s_or_saveexec_b64 s[52:53], s[50:51]               // apply combined mask
s_cbranch_execnz label_0125                        // try again if not complete
label_0126:
s_mov_b64 exec, -1                                 // full mask -> exec
s_nop 0                                            // 1 wait state required when next inst writes vgprs held by previous dwordx4 store inst
/* optSingleColVgpr=0 optSharedColVgpr=0 optSGPRUsage=None optSrdIncForRow=0 */
s_sleep 1 // optimization: sync and wait
s_barrier

/******************************************/
/* Global Write Alpha Edge Batch #16 (d1,d0,vc1,vc0) = */
/*    (16,0,0,0:vw2:vaw:1); (16,1,0,0:vw2:vaw:1) */
/******************************************/

/* calc coords, apply mask, and issue loads (if necessary) */
/* (d1,vc1,d0,vc0)=(16,0,0,0) */
_v_add_co_u32 v1, vcc, v1, 4                       // coord1.1: coord1Vgpr += d1*sg1*VW + vc1

/* Fix for UseInitialStridesCD, emitAddressSetupCode */
s_mul_i32 s50, s[sgprStrideC1J], 4                 // scale stride
_v_add_u32 v2, v2, s50                             // ROWINC- Move cinRowPtr to next row
s_mul_i32 s50, s[sgprStrideD1J], 4                 // scale stride
_v_add_u32 v3, v3, s50                             // Move coutRowPtr to next row
v_cmp_lt_u32 s[50:51], v0, s[sgprSizeI]            // coord0 < size0
v_cmp_lt_u32 s[54:55], v1, s[sgprSizeJ]            // coord1 < size1
s_and_b64 s[54:55], s[50:51], s[54:55]             // in0 && in1
_v_add_lshl_u32 v6, v3, v0, 0x3                    // scaleToBpe: accumulate d0 lower and *= bpe into Cin addr
v_cndmask_b32 v6, -1, v6, s[54:55]                 // LDD clip if OOB. offset
_buffer_load_b128 v[12:15], v6, s[sgprSrdD:sgprSrdD+3], 0, offen offset:0 // load D (atomic) bpm=16 vaw=1
/* (d1,vc1,d0,vc0)=(16,0,1,0) */
s_mov_b32 s50, 128                                 // coordOffset0 d0=1 vc0=0
_v_add_co_u32 v4, vcc, v0, s50                     // coord0.2: coord0 += d0*sg0*VW + vc0
v_cmp_lt_u32 s[50:51], v4, s[sgprSizeI]            // coord0 < size0
v_cmp_lt_u32 s[58:59], v1, s[sgprSizeJ]            // coord1 < size1
s_and_b64 s[58:59], s[50:51], s[58:59]             // in0 && in1
_v_add_lshl_u32 v7, v3, v4, 0x3                    // scaleToBpe: accumulate d0 lower and *= bpe into Cin addr
v_cndmask_b32 v7, -1, v7, s[58:59]                 // LDD clip if OOB. offset
_buffer_load_b128 v[28:31], v7, s[sgprSrdD:sgprSrdD+3], 0, offen offset:0 // load D (atomic) bpm=16 vaw=1
v_accvgpr_read_b32 v[vgprValuC+16], acc128 // copy acc to vreg[128]
v_accvgpr_read_b32 v[vgprValuC+17], acc129 // copy acc to vreg[129]
v_accvgpr_read_b32 v[vgprValuC+18], acc136 // copy acc to vreg[130]
v_accvgpr_read_b32 v[vgprValuC+19], acc137 // copy acc to vreg[131]
v_accvgpr_read_b32 v[vgprValuC+20], acc144 // copy acc to vreg[132]
v_accvgpr_read_b32 v[vgprValuC+21], acc145 // copy acc to vreg[133]
v_accvgpr_read_b32 v[vgprValuC+22], acc152 // copy acc to vreg[134]
v_accvgpr_read_b32 v[vgprValuC+23], acc153 // copy acc to vreg[135]
s_nop 1                                            // 2 wait states required before reading vgpr

/* rC *= alpha batchElements=[(16, 0, 0, 0), (16, 1, 0, 0)] */
v_mul_f64 v[vgprValuC+16:vgprValuC+16+1], s[sgprAlpha:sgprAlpha+1], v[vgprValuC+16:vgprValuC+16+1] // *= alpha
v_mul_f64 v[vgprValuC+18:vgprValuC+18+1], s[sgprAlpha:sgprAlpha+1], v[vgprValuC+18:vgprValuC+18+1] // *= alpha
	;; [unrolled: 1-line block ×4, first 2 shown]
s_waitcnt vmcnt(0)                                 // wait C (atomic)

/* issue first atomic writes */
s_mov_b64 exec, s[54:55]                           // sgprs -> exec (before atomic)
v_mov_b32 v10, v12                                 // v_mov for reordering loaded data
v_mov_b32 v11, v13                                 // v_mov for reordering loaded data
v_add_f64 v[8:9], v[10:11], v[vgprValuC+16:vgprValuC+16+1] // desired value
_buffer_atomic_cmpswap_b64 v[8:11], v6, s[sgprSrdD:sgprSrdD+3] 0 offen offset:0 glc   // attempt write
v_add_f64 v[12:13], v[14:15], v[vgprValuC+18:vgprValuC+18+1] // desired value
_buffer_atomic_cmpswap_b64 v[12:15], v6, s[sgprSrdD:sgprSrdD+3] 0 offen offset:8 glc   // attempt write
s_mov_b64 exec, s[58:59]                           // sgprs -> exec (before atomic)
v_mov_b32 v26, v28                                 // v_mov for reordering loaded data
v_mov_b32 v27, v29                                 // v_mov for reordering loaded data
v_add_f64 v[24:25], v[26:27], v[vgprValuC+20:vgprValuC+20+1] // desired value
_buffer_atomic_cmpswap_b64 v[24:27], v7, s[sgprSrdD:sgprSrdD+3] 0 offen offset:0 glc   // attempt write
v_add_f64 v[28:29], v[30:31], v[vgprValuC+22:vgprValuC+22+1] // desired value
_buffer_atomic_cmpswap_b64 v[28:31], v7, s[sgprSrdD:sgprSrdD+3] 0 offen offset:8 glc   // attempt write
s_mov_b64 s[56:57], s[54:55]                       // copy out of range mask from the first one
s_mov_b64 s[60:61], s[58:59]                       // copy out of range mask from the first one
s_waitcnt vmcnt(0)                                 // wait for atomic writes

/* check success of writes, update masks */
s_mov_b64 exec, s[54:55]                           // sgprs -> exec
v_cmp_ne_u64 s[50:51], v[8:9], v[10:11]            // c read during atomic != c read during prior load
s_and_b64 s[54:55], s[50:51], s[54:55]             // inBounds & must try again
s_mov_b64 exec, s[56:57]                           // sgprs -> exec
v_cmp_ne_u64 s[50:51], v[12:13], v[14:15]          // c read during atomic != c read during prior load
s_and_b64 s[56:57], s[50:51], s[56:57]             // inBounds & must try again
s_mov_b64 exec, s[58:59]                           // sgprs -> exec
v_cmp_ne_u64 s[50:51], v[24:25], v[26:27]          // c read during atomic != c read during prior load
	;; [unrolled: 3-line block ×3, first 2 shown]
s_and_b64 s[60:61], s[50:51], s[60:61]             // inBounds & must try again

/* or masks to check for exit */
s_mov_b64 s[50:51], 0x0                            // empty mask
s_or_b64 s[50:51], s[54:55], s[50:51]              // or to add threads
s_or_b64 s[50:51], s[56:57], s[50:51]              // or to add threads
s_or_b64 s[50:51], s[58:59], s[50:51]              // or to add threads
s_or_b64 s[50:51], s[60:61], s[50:51]              // or to add threads
s_or_saveexec_b64 s[52:53], s[50:51]               // apply combined mask
s_cbranch_execz label_0128                         // if exec is zero skip loop

/* atomic CAS loop */
label_0127:

/* apply updated masks and issue writes again */
s_mov_b64 exec, s[54:55]                           // must try again
v_mov_b32 v10, v8                                  // dataV+2 = tmp (new original C)
v_mov_b32 v11, v9                                  // dataV+3 = tmp (new original C)
v_add_f64 v[8:9], v[10:11], v[vgprValuC+16:vgprValuC+16+1] // newC = rC + originalC
_buffer_atomic_cmpswap_b64 v[8:11], v6, s[sgprSrdD:sgprSrdD+3] 0 offen offset:0 glc   // attempt write
s_mov_b64 exec, s[56:57]                           // must try again
v_mov_b32 v14, v12                                 // dataV+2 = tmp (new original C)
v_mov_b32 v15, v13                                 // dataV+3 = tmp (new original C)
v_add_f64 v[12:13], v[14:15], v[vgprValuC+18:vgprValuC+18+1] // newC = rC + originalC
_buffer_atomic_cmpswap_b64 v[12:15], v6, s[sgprSrdD:sgprSrdD+3] 0 offen offset:8 glc   // attempt write
s_mov_b64 exec, s[58:59]                           // must try again
v_mov_b32 v26, v24                                 // dataV+2 = tmp (new original C)
v_mov_b32 v27, v25                                 // dataV+3 = tmp (new original C)
	;; [unrolled: 5-line block ×3, first 2 shown]
v_add_f64 v[28:29], v[30:31], v[vgprValuC+22:vgprValuC+22+1] // newC = rC + originalC
_buffer_atomic_cmpswap_b64 v[28:31], v7, s[sgprSrdD:sgprSrdD+3] 0 offen offset:8 glc   // attempt write
s_waitcnt vmcnt(0)                                 // wait for atomic writes

/* apply masks and check for success */
s_mov_b64 exec, s[54:55]                           // must try again
v_cmp_ne_u64 s[50:51], v[8:9], v[10:11]            // c read during atomic != c read during prior load
s_and_b64 s[54:55], s[50:51], s[54:55]             // inBounds & must try again
s_mov_b64 exec, s[56:57]                           // must try again
v_cmp_ne_u64 s[50:51], v[12:13], v[14:15]          // c read during atomic != c read during prior load
s_and_b64 s[56:57], s[50:51], s[56:57]             // inBounds & must try again
s_mov_b64 exec, s[58:59]                           // must try again
v_cmp_ne_u64 s[50:51], v[24:25], v[26:27]          // c read during atomic != c read during prior load
	;; [unrolled: 3-line block ×3, first 2 shown]
s_and_b64 s[60:61], s[50:51], s[60:61]             // inBounds & must try again

/* or masks to check for exit */
s_mov_b64 s[50:51], 0x0                            // empty mask
s_or_b64 s[50:51], s[54:55], s[50:51]              // or to add threads
s_or_b64 s[50:51], s[56:57], s[50:51]              // or to add threads
	;; [unrolled: 1-line block ×4, first 2 shown]
s_or_saveexec_b64 s[52:53], s[50:51]               // apply combined mask
s_cbranch_execnz label_0127                        // try again if not complete
label_0128:
s_mov_b64 exec, -1                                 // full mask -> exec
s_nop 0                                            // 1 wait state required when next inst writes vgprs held by previous dwordx4 store inst
/* optSingleColVgpr=0 optSharedColVgpr=0 optSGPRUsage=None optSrdIncForRow=0 */
s_sleep 1 // optimization: sync and wait
s_barrier

/******************************************/
/* Global Write Alpha Edge Batch #17 (d1,d0,vc1,vc0) = */
/*    (17,0,0,0:vw2:vaw:1); (17,1,0,0:vw2:vaw:1) */
/******************************************/

/* calc coords, apply mask, and issue loads (if necessary) */
/* (d1,vc1,d0,vc0)=(17,0,0,0) */
_v_add_co_u32 v1, vcc, v1, 4                       // coord1.1: coord1Vgpr += d1*sg1*VW + vc1

/* Fix for UseInitialStridesCD, emitAddressSetupCode */
s_mul_i32 s50, s[sgprStrideC1J], 4                 // scale stride
_v_add_u32 v2, v2, s50                             // ROWINC- Move cinRowPtr to next row
s_mul_i32 s50, s[sgprStrideD1J], 4                 // scale stride
_v_add_u32 v3, v3, s50                             // Move coutRowPtr to next row
v_cmp_lt_u32 s[50:51], v0, s[sgprSizeI]            // coord0 < size0
v_cmp_lt_u32 s[54:55], v1, s[sgprSizeJ]            // coord1 < size1
s_and_b64 s[54:55], s[50:51], s[54:55]             // in0 && in1
_v_add_lshl_u32 v6, v3, v0, 0x3                    // scaleToBpe: accumulate d0 lower and *= bpe into Cin addr
v_cndmask_b32 v6, -1, v6, s[54:55]                 // LDD clip if OOB. offset
_buffer_load_b128 v[12:15], v6, s[sgprSrdD:sgprSrdD+3], 0, offen offset:0 // load D (atomic) bpm=16 vaw=1
/* (d1,vc1,d0,vc0)=(17,0,1,0) */
s_mov_b32 s50, 128                                 // coordOffset0 d0=1 vc0=0
_v_add_co_u32 v4, vcc, v0, s50                     // coord0.2: coord0 += d0*sg0*VW + vc0
v_cmp_lt_u32 s[50:51], v4, s[sgprSizeI]            // coord0 < size0
v_cmp_lt_u32 s[58:59], v1, s[sgprSizeJ]            // coord1 < size1
s_and_b64 s[58:59], s[50:51], s[58:59]             // in0 && in1
_v_add_lshl_u32 v7, v3, v4, 0x3                    // scaleToBpe: accumulate d0 lower and *= bpe into Cin addr
v_cndmask_b32 v7, -1, v7, s[58:59]                 // LDD clip if OOB. offset
_buffer_load_b128 v[28:31], v7, s[sgprSrdD:sgprSrdD+3], 0, offen offset:0 // load D (atomic) bpm=16 vaw=1
v_accvgpr_read_b32 v[vgprValuC+16], acc130 // copy acc to vreg[136]
v_accvgpr_read_b32 v[vgprValuC+17], acc131 // copy acc to vreg[137]
v_accvgpr_read_b32 v[vgprValuC+18], acc138 // copy acc to vreg[138]
v_accvgpr_read_b32 v[vgprValuC+19], acc139 // copy acc to vreg[139]
v_accvgpr_read_b32 v[vgprValuC+20], acc146 // copy acc to vreg[140]
v_accvgpr_read_b32 v[vgprValuC+21], acc147 // copy acc to vreg[141]
v_accvgpr_read_b32 v[vgprValuC+22], acc154 // copy acc to vreg[142]
v_accvgpr_read_b32 v[vgprValuC+23], acc155 // copy acc to vreg[143]
s_nop 1                                            // 2 wait states required before reading vgpr

/* rC *= alpha batchElements=[(17, 0, 0, 0), (17, 1, 0, 0)] */
v_mul_f64 v[vgprValuC+16:vgprValuC+16+1], s[sgprAlpha:sgprAlpha+1], v[vgprValuC+16:vgprValuC+16+1] // *= alpha
v_mul_f64 v[vgprValuC+18:vgprValuC+18+1], s[sgprAlpha:sgprAlpha+1], v[vgprValuC+18:vgprValuC+18+1] // *= alpha
	;; [unrolled: 1-line block ×4, first 2 shown]
s_waitcnt vmcnt(0)                                 // wait C (atomic)

/* issue first atomic writes */
s_mov_b64 exec, s[54:55]                           // sgprs -> exec (before atomic)
v_mov_b32 v10, v12                                 // v_mov for reordering loaded data
v_mov_b32 v11, v13                                 // v_mov for reordering loaded data
v_add_f64 v[8:9], v[10:11], v[vgprValuC+16:vgprValuC+16+1] // desired value
_buffer_atomic_cmpswap_b64 v[8:11], v6, s[sgprSrdD:sgprSrdD+3] 0 offen offset:0 glc   // attempt write
v_add_f64 v[12:13], v[14:15], v[vgprValuC+18:vgprValuC+18+1] // desired value
_buffer_atomic_cmpswap_b64 v[12:15], v6, s[sgprSrdD:sgprSrdD+3] 0 offen offset:8 glc   // attempt write
s_mov_b64 exec, s[58:59]                           // sgprs -> exec (before atomic)
v_mov_b32 v26, v28                                 // v_mov for reordering loaded data
v_mov_b32 v27, v29                                 // v_mov for reordering loaded data
v_add_f64 v[24:25], v[26:27], v[vgprValuC+20:vgprValuC+20+1] // desired value
_buffer_atomic_cmpswap_b64 v[24:27], v7, s[sgprSrdD:sgprSrdD+3] 0 offen offset:0 glc   // attempt write
v_add_f64 v[28:29], v[30:31], v[vgprValuC+22:vgprValuC+22+1] // desired value
_buffer_atomic_cmpswap_b64 v[28:31], v7, s[sgprSrdD:sgprSrdD+3] 0 offen offset:8 glc   // attempt write
s_mov_b64 s[56:57], s[54:55]                       // copy out of range mask from the first one
s_mov_b64 s[60:61], s[58:59]                       // copy out of range mask from the first one
s_waitcnt vmcnt(0)                                 // wait for atomic writes

/* check success of writes, update masks */
s_mov_b64 exec, s[54:55]                           // sgprs -> exec
v_cmp_ne_u64 s[50:51], v[8:9], v[10:11]            // c read during atomic != c read during prior load
s_and_b64 s[54:55], s[50:51], s[54:55]             // inBounds & must try again
s_mov_b64 exec, s[56:57]                           // sgprs -> exec
v_cmp_ne_u64 s[50:51], v[12:13], v[14:15]          // c read during atomic != c read during prior load
s_and_b64 s[56:57], s[50:51], s[56:57]             // inBounds & must try again
s_mov_b64 exec, s[58:59]                           // sgprs -> exec
v_cmp_ne_u64 s[50:51], v[24:25], v[26:27]          // c read during atomic != c read during prior load
s_and_b64 s[58:59], s[50:51], s[58:59]             // inBounds & must try again
s_mov_b64 exec, s[60:61]                           // sgprs -> exec
v_cmp_ne_u64 s[50:51], v[28:29], v[30:31]          // c read during atomic != c read during prior load
s_and_b64 s[60:61], s[50:51], s[60:61]             // inBounds & must try again

/* or masks to check for exit */
s_mov_b64 s[50:51], 0x0                            // empty mask
s_or_b64 s[50:51], s[54:55], s[50:51]              // or to add threads
s_or_b64 s[50:51], s[56:57], s[50:51]              // or to add threads
	;; [unrolled: 1-line block ×4, first 2 shown]
s_or_saveexec_b64 s[52:53], s[50:51]               // apply combined mask
s_cbranch_execz label_0130                         // if exec is zero skip loop

/* atomic CAS loop */
label_0129:

/* apply updated masks and issue writes again */
s_mov_b64 exec, s[54:55]                           // must try again
v_mov_b32 v10, v8                                  // dataV+2 = tmp (new original C)
v_mov_b32 v11, v9                                  // dataV+3 = tmp (new original C)
v_add_f64 v[8:9], v[10:11], v[vgprValuC+16:vgprValuC+16+1] // newC = rC + originalC
_buffer_atomic_cmpswap_b64 v[8:11], v6, s[sgprSrdD:sgprSrdD+3] 0 offen offset:0 glc   // attempt write
s_mov_b64 exec, s[56:57]                           // must try again
v_mov_b32 v14, v12                                 // dataV+2 = tmp (new original C)
v_mov_b32 v15, v13                                 // dataV+3 = tmp (new original C)
v_add_f64 v[12:13], v[14:15], v[vgprValuC+18:vgprValuC+18+1] // newC = rC + originalC
_buffer_atomic_cmpswap_b64 v[12:15], v6, s[sgprSrdD:sgprSrdD+3] 0 offen offset:8 glc   // attempt write
s_mov_b64 exec, s[58:59]                           // must try again
v_mov_b32 v26, v24                                 // dataV+2 = tmp (new original C)
v_mov_b32 v27, v25                                 // dataV+3 = tmp (new original C)
	;; [unrolled: 5-line block ×3, first 2 shown]
v_add_f64 v[28:29], v[30:31], v[vgprValuC+22:vgprValuC+22+1] // newC = rC + originalC
_buffer_atomic_cmpswap_b64 v[28:31], v7, s[sgprSrdD:sgprSrdD+3] 0 offen offset:8 glc   // attempt write
s_waitcnt vmcnt(0)                                 // wait for atomic writes

/* apply masks and check for success */
s_mov_b64 exec, s[54:55]                           // must try again
v_cmp_ne_u64 s[50:51], v[8:9], v[10:11]            // c read during atomic != c read during prior load
s_and_b64 s[54:55], s[50:51], s[54:55]             // inBounds & must try again
s_mov_b64 exec, s[56:57]                           // must try again
v_cmp_ne_u64 s[50:51], v[12:13], v[14:15]          // c read during atomic != c read during prior load
s_and_b64 s[56:57], s[50:51], s[56:57]             // inBounds & must try again
s_mov_b64 exec, s[58:59]                           // must try again
v_cmp_ne_u64 s[50:51], v[24:25], v[26:27]          // c read during atomic != c read during prior load
	;; [unrolled: 3-line block ×3, first 2 shown]
s_and_b64 s[60:61], s[50:51], s[60:61]             // inBounds & must try again

/* or masks to check for exit */
s_mov_b64 s[50:51], 0x0                            // empty mask
s_or_b64 s[50:51], s[54:55], s[50:51]              // or to add threads
s_or_b64 s[50:51], s[56:57], s[50:51]              // or to add threads
	;; [unrolled: 1-line block ×4, first 2 shown]
s_or_saveexec_b64 s[52:53], s[50:51]               // apply combined mask
s_cbranch_execnz label_0129                        // try again if not complete
label_0130:
s_mov_b64 exec, -1                                 // full mask -> exec
s_nop 0                                            // 1 wait state required when next inst writes vgprs held by previous dwordx4 store inst
/* optSingleColVgpr=0 optSharedColVgpr=0 optSGPRUsage=None optSrdIncForRow=0 */
s_sleep 1 // optimization: sync and wait
s_barrier

/******************************************/
/* Global Write Alpha Edge Batch #18 (d1,d0,vc1,vc0) = */
/*    (18,0,0,0:vw2:vaw:1); (18,1,0,0:vw2:vaw:1) */
/******************************************/

/* calc coords, apply mask, and issue loads (if necessary) */
/* (d1,vc1,d0,vc0)=(18,0,0,0) */
_v_add_co_u32 v1, vcc, v1, 4                       // coord1.1: coord1Vgpr += d1*sg1*VW + vc1

/* Fix for UseInitialStridesCD, emitAddressSetupCode */
s_mul_i32 s50, s[sgprStrideC1J], 4                 // scale stride
_v_add_u32 v2, v2, s50                             // ROWINC- Move cinRowPtr to next row
s_mul_i32 s50, s[sgprStrideD1J], 4                 // scale stride
_v_add_u32 v3, v3, s50                             // Move coutRowPtr to next row
v_cmp_lt_u32 s[50:51], v0, s[sgprSizeI]            // coord0 < size0
v_cmp_lt_u32 s[54:55], v1, s[sgprSizeJ]            // coord1 < size1
s_and_b64 s[54:55], s[50:51], s[54:55]             // in0 && in1
_v_add_lshl_u32 v6, v3, v0, 0x3                    // scaleToBpe: accumulate d0 lower and *= bpe into Cin addr
v_cndmask_b32 v6, -1, v6, s[54:55]                 // LDD clip if OOB. offset
_buffer_load_b128 v[12:15], v6, s[sgprSrdD:sgprSrdD+3], 0, offen offset:0 // load D (atomic) bpm=16 vaw=1
/* (d1,vc1,d0,vc0)=(18,0,1,0) */
s_mov_b32 s50, 128                                 // coordOffset0 d0=1 vc0=0
_v_add_co_u32 v4, vcc, v0, s50                     // coord0.2: coord0 += d0*sg0*VW + vc0
v_cmp_lt_u32 s[50:51], v4, s[sgprSizeI]            // coord0 < size0
v_cmp_lt_u32 s[58:59], v1, s[sgprSizeJ]            // coord1 < size1
s_and_b64 s[58:59], s[50:51], s[58:59]             // in0 && in1
_v_add_lshl_u32 v7, v3, v4, 0x3                    // scaleToBpe: accumulate d0 lower and *= bpe into Cin addr
v_cndmask_b32 v7, -1, v7, s[58:59]                 // LDD clip if OOB. offset
_buffer_load_b128 v[28:31], v7, s[sgprSrdD:sgprSrdD+3], 0, offen offset:0 // load D (atomic) bpm=16 vaw=1
v_accvgpr_read_b32 v[vgprValuC+16], acc132 // copy acc to vreg[144]
v_accvgpr_read_b32 v[vgprValuC+17], acc133 // copy acc to vreg[145]
v_accvgpr_read_b32 v[vgprValuC+18], acc140 // copy acc to vreg[146]
v_accvgpr_read_b32 v[vgprValuC+19], acc141 // copy acc to vreg[147]
v_accvgpr_read_b32 v[vgprValuC+20], acc148 // copy acc to vreg[148]
v_accvgpr_read_b32 v[vgprValuC+21], acc149 // copy acc to vreg[149]
v_accvgpr_read_b32 v[vgprValuC+22], acc156 // copy acc to vreg[150]
v_accvgpr_read_b32 v[vgprValuC+23], acc157 // copy acc to vreg[151]
s_nop 1                                            // 2 wait states required before reading vgpr

/* rC *= alpha batchElements=[(18, 0, 0, 0), (18, 1, 0, 0)] */
v_mul_f64 v[vgprValuC+16:vgprValuC+16+1], s[sgprAlpha:sgprAlpha+1], v[vgprValuC+16:vgprValuC+16+1] // *= alpha
v_mul_f64 v[vgprValuC+18:vgprValuC+18+1], s[sgprAlpha:sgprAlpha+1], v[vgprValuC+18:vgprValuC+18+1] // *= alpha
	;; [unrolled: 1-line block ×4, first 2 shown]
s_waitcnt vmcnt(0)                                 // wait C (atomic)

/* issue first atomic writes */
s_mov_b64 exec, s[54:55]                           // sgprs -> exec (before atomic)
v_mov_b32 v10, v12                                 // v_mov for reordering loaded data
v_mov_b32 v11, v13                                 // v_mov for reordering loaded data
v_add_f64 v[8:9], v[10:11], v[vgprValuC+16:vgprValuC+16+1] // desired value
_buffer_atomic_cmpswap_b64 v[8:11], v6, s[sgprSrdD:sgprSrdD+3] 0 offen offset:0 glc   // attempt write
v_add_f64 v[12:13], v[14:15], v[vgprValuC+18:vgprValuC+18+1] // desired value
_buffer_atomic_cmpswap_b64 v[12:15], v6, s[sgprSrdD:sgprSrdD+3] 0 offen offset:8 glc   // attempt write
s_mov_b64 exec, s[58:59]                           // sgprs -> exec (before atomic)
v_mov_b32 v26, v28                                 // v_mov for reordering loaded data
v_mov_b32 v27, v29                                 // v_mov for reordering loaded data
v_add_f64 v[24:25], v[26:27], v[vgprValuC+20:vgprValuC+20+1] // desired value
_buffer_atomic_cmpswap_b64 v[24:27], v7, s[sgprSrdD:sgprSrdD+3] 0 offen offset:0 glc   // attempt write
v_add_f64 v[28:29], v[30:31], v[vgprValuC+22:vgprValuC+22+1] // desired value
_buffer_atomic_cmpswap_b64 v[28:31], v7, s[sgprSrdD:sgprSrdD+3] 0 offen offset:8 glc   // attempt write
s_mov_b64 s[56:57], s[54:55]                       // copy out of range mask from the first one
s_mov_b64 s[60:61], s[58:59]                       // copy out of range mask from the first one
s_waitcnt vmcnt(0)                                 // wait for atomic writes

/* check success of writes, update masks */
s_mov_b64 exec, s[54:55]                           // sgprs -> exec
v_cmp_ne_u64 s[50:51], v[8:9], v[10:11]            // c read during atomic != c read during prior load
s_and_b64 s[54:55], s[50:51], s[54:55]             // inBounds & must try again
s_mov_b64 exec, s[56:57]                           // sgprs -> exec
v_cmp_ne_u64 s[50:51], v[12:13], v[14:15]          // c read during atomic != c read during prior load
s_and_b64 s[56:57], s[50:51], s[56:57]             // inBounds & must try again
s_mov_b64 exec, s[58:59]                           // sgprs -> exec
v_cmp_ne_u64 s[50:51], v[24:25], v[26:27]          // c read during atomic != c read during prior load
	;; [unrolled: 3-line block ×3, first 2 shown]
s_and_b64 s[60:61], s[50:51], s[60:61]             // inBounds & must try again

/* or masks to check for exit */
s_mov_b64 s[50:51], 0x0                            // empty mask
s_or_b64 s[50:51], s[54:55], s[50:51]              // or to add threads
s_or_b64 s[50:51], s[56:57], s[50:51]              // or to add threads
	;; [unrolled: 1-line block ×4, first 2 shown]
s_or_saveexec_b64 s[52:53], s[50:51]               // apply combined mask
s_cbranch_execz label_0132                         // if exec is zero skip loop

/* atomic CAS loop */
label_0131:

/* apply updated masks and issue writes again */
s_mov_b64 exec, s[54:55]                           // must try again
v_mov_b32 v10, v8                                  // dataV+2 = tmp (new original C)
v_mov_b32 v11, v9                                  // dataV+3 = tmp (new original C)
v_add_f64 v[8:9], v[10:11], v[vgprValuC+16:vgprValuC+16+1] // newC = rC + originalC
_buffer_atomic_cmpswap_b64 v[8:11], v6, s[sgprSrdD:sgprSrdD+3] 0 offen offset:0 glc   // attempt write
s_mov_b64 exec, s[56:57]                           // must try again
v_mov_b32 v14, v12                                 // dataV+2 = tmp (new original C)
v_mov_b32 v15, v13                                 // dataV+3 = tmp (new original C)
v_add_f64 v[12:13], v[14:15], v[vgprValuC+18:vgprValuC+18+1] // newC = rC + originalC
_buffer_atomic_cmpswap_b64 v[12:15], v6, s[sgprSrdD:sgprSrdD+3] 0 offen offset:8 glc   // attempt write
s_mov_b64 exec, s[58:59]                           // must try again
v_mov_b32 v26, v24                                 // dataV+2 = tmp (new original C)
v_mov_b32 v27, v25                                 // dataV+3 = tmp (new original C)
	;; [unrolled: 5-line block ×3, first 2 shown]
v_add_f64 v[28:29], v[30:31], v[vgprValuC+22:vgprValuC+22+1] // newC = rC + originalC
_buffer_atomic_cmpswap_b64 v[28:31], v7, s[sgprSrdD:sgprSrdD+3] 0 offen offset:8 glc   // attempt write
s_waitcnt vmcnt(0)                                 // wait for atomic writes

/* apply masks and check for success */
s_mov_b64 exec, s[54:55]                           // must try again
v_cmp_ne_u64 s[50:51], v[8:9], v[10:11]            // c read during atomic != c read during prior load
s_and_b64 s[54:55], s[50:51], s[54:55]             // inBounds & must try again
s_mov_b64 exec, s[56:57]                           // must try again
v_cmp_ne_u64 s[50:51], v[12:13], v[14:15]          // c read during atomic != c read during prior load
s_and_b64 s[56:57], s[50:51], s[56:57]             // inBounds & must try again
s_mov_b64 exec, s[58:59]                           // must try again
v_cmp_ne_u64 s[50:51], v[24:25], v[26:27]          // c read during atomic != c read during prior load
	;; [unrolled: 3-line block ×3, first 2 shown]
s_and_b64 s[60:61], s[50:51], s[60:61]             // inBounds & must try again

/* or masks to check for exit */
s_mov_b64 s[50:51], 0x0                            // empty mask
s_or_b64 s[50:51], s[54:55], s[50:51]              // or to add threads
s_or_b64 s[50:51], s[56:57], s[50:51]              // or to add threads
	;; [unrolled: 1-line block ×4, first 2 shown]
s_or_saveexec_b64 s[52:53], s[50:51]               // apply combined mask
s_cbranch_execnz label_0131                        // try again if not complete
label_0132:
s_mov_b64 exec, -1                                 // full mask -> exec
s_nop 0                                            // 1 wait state required when next inst writes vgprs held by previous dwordx4 store inst
/* optSingleColVgpr=0 optSharedColVgpr=0 optSGPRUsage=None optSrdIncForRow=0 */
s_sleep 1 // optimization: sync and wait
s_barrier

/******************************************/
/* Global Write Alpha Edge Batch #19 (d1,d0,vc1,vc0) = */
/*    (19,0,0,0:vw2:vaw:1); (19,1,0,0:vw2:vaw:1) */
/******************************************/

/* calc coords, apply mask, and issue loads (if necessary) */
/* (d1,vc1,d0,vc0)=(19,0,0,0) */
_v_add_co_u32 v1, vcc, v1, 4                       // coord1.1: coord1Vgpr += d1*sg1*VW + vc1

/* Fix for UseInitialStridesCD, emitAddressSetupCode */
s_mul_i32 s50, s[sgprStrideC1J], 4                 // scale stride
_v_add_u32 v2, v2, s50                             // ROWINC- Move cinRowPtr to next row
s_mul_i32 s50, s[sgprStrideD1J], 4                 // scale stride
_v_add_u32 v3, v3, s50                             // Move coutRowPtr to next row
v_cmp_lt_u32 s[50:51], v0, s[sgprSizeI]            // coord0 < size0
v_cmp_lt_u32 s[54:55], v1, s[sgprSizeJ]            // coord1 < size1
s_and_b64 s[54:55], s[50:51], s[54:55]             // in0 && in1
_v_add_lshl_u32 v6, v3, v0, 0x3                    // scaleToBpe: accumulate d0 lower and *= bpe into Cin addr
v_cndmask_b32 v6, -1, v6, s[54:55]                 // LDD clip if OOB. offset
_buffer_load_b128 v[12:15], v6, s[sgprSrdD:sgprSrdD+3], 0, offen offset:0 // load D (atomic) bpm=16 vaw=1
/* (d1,vc1,d0,vc0)=(19,0,1,0) */
s_mov_b32 s50, 128                                 // coordOffset0 d0=1 vc0=0
_v_add_co_u32 v4, vcc, v0, s50                     // coord0.2: coord0 += d0*sg0*VW + vc0
v_cmp_lt_u32 s[50:51], v4, s[sgprSizeI]            // coord0 < size0
v_cmp_lt_u32 s[58:59], v1, s[sgprSizeJ]            // coord1 < size1
s_and_b64 s[58:59], s[50:51], s[58:59]             // in0 && in1
_v_add_lshl_u32 v7, v3, v4, 0x3                    // scaleToBpe: accumulate d0 lower and *= bpe into Cin addr
v_cndmask_b32 v7, -1, v7, s[58:59]                 // LDD clip if OOB. offset
_buffer_load_b128 v[28:31], v7, s[sgprSrdD:sgprSrdD+3], 0, offen offset:0 // load D (atomic) bpm=16 vaw=1
v_accvgpr_read_b32 v[vgprValuC+16], acc134 // copy acc to vreg[152]
v_accvgpr_read_b32 v[vgprValuC+17], acc135 // copy acc to vreg[153]
v_accvgpr_read_b32 v[vgprValuC+18], acc142 // copy acc to vreg[154]
v_accvgpr_read_b32 v[vgprValuC+19], acc143 // copy acc to vreg[155]
v_accvgpr_read_b32 v[vgprValuC+20], acc150 // copy acc to vreg[156]
v_accvgpr_read_b32 v[vgprValuC+21], acc151 // copy acc to vreg[157]
v_accvgpr_read_b32 v[vgprValuC+22], acc158 // copy acc to vreg[158]
v_accvgpr_read_b32 v[vgprValuC+23], acc159 // copy acc to vreg[159]
s_nop 1                                            // 2 wait states required before reading vgpr

/* rC *= alpha batchElements=[(19, 0, 0, 0), (19, 1, 0, 0)] */
v_mul_f64 v[vgprValuC+16:vgprValuC+16+1], s[sgprAlpha:sgprAlpha+1], v[vgprValuC+16:vgprValuC+16+1] // *= alpha
v_mul_f64 v[vgprValuC+18:vgprValuC+18+1], s[sgprAlpha:sgprAlpha+1], v[vgprValuC+18:vgprValuC+18+1] // *= alpha
	;; [unrolled: 1-line block ×4, first 2 shown]
s_waitcnt vmcnt(0)                                 // wait C (atomic)

/* issue first atomic writes */
s_mov_b64 exec, s[54:55]                           // sgprs -> exec (before atomic)
v_mov_b32 v10, v12                                 // v_mov for reordering loaded data
v_mov_b32 v11, v13                                 // v_mov for reordering loaded data
v_add_f64 v[8:9], v[10:11], v[vgprValuC+16:vgprValuC+16+1] // desired value
_buffer_atomic_cmpswap_b64 v[8:11], v6, s[sgprSrdD:sgprSrdD+3] 0 offen offset:0 glc   // attempt write
v_add_f64 v[12:13], v[14:15], v[vgprValuC+18:vgprValuC+18+1] // desired value
_buffer_atomic_cmpswap_b64 v[12:15], v6, s[sgprSrdD:sgprSrdD+3] 0 offen offset:8 glc   // attempt write
s_mov_b64 exec, s[58:59]                           // sgprs -> exec (before atomic)
v_mov_b32 v26, v28                                 // v_mov for reordering loaded data
v_mov_b32 v27, v29                                 // v_mov for reordering loaded data
v_add_f64 v[24:25], v[26:27], v[vgprValuC+20:vgprValuC+20+1] // desired value
_buffer_atomic_cmpswap_b64 v[24:27], v7, s[sgprSrdD:sgprSrdD+3] 0 offen offset:0 glc   // attempt write
v_add_f64 v[28:29], v[30:31], v[vgprValuC+22:vgprValuC+22+1] // desired value
_buffer_atomic_cmpswap_b64 v[28:31], v7, s[sgprSrdD:sgprSrdD+3] 0 offen offset:8 glc   // attempt write
s_mov_b64 s[56:57], s[54:55]                       // copy out of range mask from the first one
s_mov_b64 s[60:61], s[58:59]                       // copy out of range mask from the first one
s_waitcnt vmcnt(0)                                 // wait for atomic writes

/* check success of writes, update masks */
s_mov_b64 exec, s[54:55]                           // sgprs -> exec
v_cmp_ne_u64 s[50:51], v[8:9], v[10:11]            // c read during atomic != c read during prior load
s_and_b64 s[54:55], s[50:51], s[54:55]             // inBounds & must try again
s_mov_b64 exec, s[56:57]                           // sgprs -> exec
v_cmp_ne_u64 s[50:51], v[12:13], v[14:15]          // c read during atomic != c read during prior load
s_and_b64 s[56:57], s[50:51], s[56:57]             // inBounds & must try again
s_mov_b64 exec, s[58:59]                           // sgprs -> exec
v_cmp_ne_u64 s[50:51], v[24:25], v[26:27]          // c read during atomic != c read during prior load
	;; [unrolled: 3-line block ×3, first 2 shown]
s_and_b64 s[60:61], s[50:51], s[60:61]             // inBounds & must try again

/* or masks to check for exit */
s_mov_b64 s[50:51], 0x0                            // empty mask
s_or_b64 s[50:51], s[54:55], s[50:51]              // or to add threads
s_or_b64 s[50:51], s[56:57], s[50:51]              // or to add threads
	;; [unrolled: 1-line block ×4, first 2 shown]
s_or_saveexec_b64 s[52:53], s[50:51]               // apply combined mask
s_cbranch_execz label_0134                         // if exec is zero skip loop

/* atomic CAS loop */
label_0133:

/* apply updated masks and issue writes again */
s_mov_b64 exec, s[54:55]                           // must try again
v_mov_b32 v10, v8                                  // dataV+2 = tmp (new original C)
v_mov_b32 v11, v9                                  // dataV+3 = tmp (new original C)
v_add_f64 v[8:9], v[10:11], v[vgprValuC+16:vgprValuC+16+1] // newC = rC + originalC
_buffer_atomic_cmpswap_b64 v[8:11], v6, s[sgprSrdD:sgprSrdD+3] 0 offen offset:0 glc   // attempt write
s_mov_b64 exec, s[56:57]                           // must try again
v_mov_b32 v14, v12                                 // dataV+2 = tmp (new original C)
v_mov_b32 v15, v13                                 // dataV+3 = tmp (new original C)
v_add_f64 v[12:13], v[14:15], v[vgprValuC+18:vgprValuC+18+1] // newC = rC + originalC
_buffer_atomic_cmpswap_b64 v[12:15], v6, s[sgprSrdD:sgprSrdD+3] 0 offen offset:8 glc   // attempt write
s_mov_b64 exec, s[58:59]                           // must try again
v_mov_b32 v26, v24                                 // dataV+2 = tmp (new original C)
v_mov_b32 v27, v25                                 // dataV+3 = tmp (new original C)
	;; [unrolled: 5-line block ×3, first 2 shown]
v_add_f64 v[28:29], v[30:31], v[vgprValuC+22:vgprValuC+22+1] // newC = rC + originalC
_buffer_atomic_cmpswap_b64 v[28:31], v7, s[sgprSrdD:sgprSrdD+3] 0 offen offset:8 glc   // attempt write
s_waitcnt vmcnt(0)                                 // wait for atomic writes

/* apply masks and check for success */
s_mov_b64 exec, s[54:55]                           // must try again
v_cmp_ne_u64 s[50:51], v[8:9], v[10:11]            // c read during atomic != c read during prior load
s_and_b64 s[54:55], s[50:51], s[54:55]             // inBounds & must try again
s_mov_b64 exec, s[56:57]                           // must try again
v_cmp_ne_u64 s[50:51], v[12:13], v[14:15]          // c read during atomic != c read during prior load
s_and_b64 s[56:57], s[50:51], s[56:57]             // inBounds & must try again
s_mov_b64 exec, s[58:59]                           // must try again
v_cmp_ne_u64 s[50:51], v[24:25], v[26:27]          // c read during atomic != c read during prior load
s_and_b64 s[58:59], s[50:51], s[58:59]             // inBounds & must try again
s_mov_b64 exec, s[60:61]                           // must try again
v_cmp_ne_u64 s[50:51], v[28:29], v[30:31]          // c read during atomic != c read during prior load
s_and_b64 s[60:61], s[50:51], s[60:61]             // inBounds & must try again

/* or masks to check for exit */
s_mov_b64 s[50:51], 0x0                            // empty mask
s_or_b64 s[50:51], s[54:55], s[50:51]              // or to add threads
s_or_b64 s[50:51], s[56:57], s[50:51]              // or to add threads
	;; [unrolled: 1-line block ×4, first 2 shown]
s_or_saveexec_b64 s[52:53], s[50:51]               // apply combined mask
s_cbranch_execnz label_0133                        // try again if not complete
label_0134:
s_mov_b64 exec, -1                                 // full mask -> exec
s_nop 0                                            // 1 wait state required when next inst writes vgprs held by previous dwordx4 store inst
/* optSingleColVgpr=0 optSharedColVgpr=0 optSGPRUsage=None optSrdIncForRow=0 */
s_sleep 1 // optimization: sync and wait
s_barrier

/******************************************/
/* Global Write Alpha Edge Batch #20 (d1,d0,vc1,vc0) = */
/*    (20,0,0,0:vw2:vaw:1); (20,1,0,0:vw2:vaw:1) */
/******************************************/

/* calc coords, apply mask, and issue loads (if necessary) */
/* (d1,vc1,d0,vc0)=(20,0,0,0) */
_v_add_co_u32 v1, vcc, v1, 4                       // coord1.1: coord1Vgpr += d1*sg1*VW + vc1

/* Fix for UseInitialStridesCD, emitAddressSetupCode */
s_mul_i32 s50, s[sgprStrideC1J], 4                 // scale stride
_v_add_u32 v2, v2, s50                             // ROWINC- Move cinRowPtr to next row
s_mul_i32 s50, s[sgprStrideD1J], 4                 // scale stride
_v_add_u32 v3, v3, s50                             // Move coutRowPtr to next row
v_cmp_lt_u32 s[50:51], v0, s[sgprSizeI]            // coord0 < size0
v_cmp_lt_u32 s[54:55], v1, s[sgprSizeJ]            // coord1 < size1
s_and_b64 s[54:55], s[50:51], s[54:55]             // in0 && in1
_v_add_lshl_u32 v6, v3, v0, 0x3                    // scaleToBpe: accumulate d0 lower and *= bpe into Cin addr
v_cndmask_b32 v6, -1, v6, s[54:55]                 // LDD clip if OOB. offset
_buffer_load_b128 v[12:15], v6, s[sgprSrdD:sgprSrdD+3], 0, offen offset:0 // load D (atomic) bpm=16 vaw=1
/* (d1,vc1,d0,vc0)=(20,0,1,0) */
s_mov_b32 s50, 128                                 // coordOffset0 d0=1 vc0=0
_v_add_co_u32 v4, vcc, v0, s50                     // coord0.2: coord0 += d0*sg0*VW + vc0
v_cmp_lt_u32 s[50:51], v4, s[sgprSizeI]            // coord0 < size0
v_cmp_lt_u32 s[58:59], v1, s[sgprSizeJ]            // coord1 < size1
s_and_b64 s[58:59], s[50:51], s[58:59]             // in0 && in1
_v_add_lshl_u32 v7, v3, v4, 0x3                    // scaleToBpe: accumulate d0 lower and *= bpe into Cin addr
v_cndmask_b32 v7, -1, v7, s[58:59]                 // LDD clip if OOB. offset
_buffer_load_b128 v[28:31], v7, s[sgprSrdD:sgprSrdD+3], 0, offen offset:0 // load D (atomic) bpm=16 vaw=1
v_accvgpr_read_b32 v[vgprValuC+16], acc160 // copy acc to vreg[160]
v_accvgpr_read_b32 v[vgprValuC+17], acc161 // copy acc to vreg[161]
v_accvgpr_read_b32 v[vgprValuC+18], acc168 // copy acc to vreg[162]
v_accvgpr_read_b32 v[vgprValuC+19], acc169 // copy acc to vreg[163]
v_accvgpr_read_b32 v[vgprValuC+20], acc176 // copy acc to vreg[164]
v_accvgpr_read_b32 v[vgprValuC+21], acc177 // copy acc to vreg[165]
v_accvgpr_read_b32 v[vgprValuC+22], acc184 // copy acc to vreg[166]
v_accvgpr_read_b32 v[vgprValuC+23], acc185 // copy acc to vreg[167]
s_nop 1                                            // 2 wait states required before reading vgpr

/* rC *= alpha batchElements=[(20, 0, 0, 0), (20, 1, 0, 0)] */
v_mul_f64 v[vgprValuC+16:vgprValuC+16+1], s[sgprAlpha:sgprAlpha+1], v[vgprValuC+16:vgprValuC+16+1] // *= alpha
v_mul_f64 v[vgprValuC+18:vgprValuC+18+1], s[sgprAlpha:sgprAlpha+1], v[vgprValuC+18:vgprValuC+18+1] // *= alpha
	;; [unrolled: 1-line block ×4, first 2 shown]
s_waitcnt vmcnt(0)                                 // wait C (atomic)

/* issue first atomic writes */
s_mov_b64 exec, s[54:55]                           // sgprs -> exec (before atomic)
v_mov_b32 v10, v12                                 // v_mov for reordering loaded data
v_mov_b32 v11, v13                                 // v_mov for reordering loaded data
v_add_f64 v[8:9], v[10:11], v[vgprValuC+16:vgprValuC+16+1] // desired value
_buffer_atomic_cmpswap_b64 v[8:11], v6, s[sgprSrdD:sgprSrdD+3] 0 offen offset:0 glc   // attempt write
v_add_f64 v[12:13], v[14:15], v[vgprValuC+18:vgprValuC+18+1] // desired value
_buffer_atomic_cmpswap_b64 v[12:15], v6, s[sgprSrdD:sgprSrdD+3] 0 offen offset:8 glc   // attempt write
s_mov_b64 exec, s[58:59]                           // sgprs -> exec (before atomic)
v_mov_b32 v26, v28                                 // v_mov for reordering loaded data
v_mov_b32 v27, v29                                 // v_mov for reordering loaded data
v_add_f64 v[24:25], v[26:27], v[vgprValuC+20:vgprValuC+20+1] // desired value
_buffer_atomic_cmpswap_b64 v[24:27], v7, s[sgprSrdD:sgprSrdD+3] 0 offen offset:0 glc   // attempt write
v_add_f64 v[28:29], v[30:31], v[vgprValuC+22:vgprValuC+22+1] // desired value
_buffer_atomic_cmpswap_b64 v[28:31], v7, s[sgprSrdD:sgprSrdD+3] 0 offen offset:8 glc   // attempt write
s_mov_b64 s[56:57], s[54:55]                       // copy out of range mask from the first one
s_mov_b64 s[60:61], s[58:59]                       // copy out of range mask from the first one
s_waitcnt vmcnt(0)                                 // wait for atomic writes

/* check success of writes, update masks */
s_mov_b64 exec, s[54:55]                           // sgprs -> exec
v_cmp_ne_u64 s[50:51], v[8:9], v[10:11]            // c read during atomic != c read during prior load
s_and_b64 s[54:55], s[50:51], s[54:55]             // inBounds & must try again
s_mov_b64 exec, s[56:57]                           // sgprs -> exec
v_cmp_ne_u64 s[50:51], v[12:13], v[14:15]          // c read during atomic != c read during prior load
s_and_b64 s[56:57], s[50:51], s[56:57]             // inBounds & must try again
s_mov_b64 exec, s[58:59]                           // sgprs -> exec
v_cmp_ne_u64 s[50:51], v[24:25], v[26:27]          // c read during atomic != c read during prior load
s_and_b64 s[58:59], s[50:51], s[58:59]             // inBounds & must try again
s_mov_b64 exec, s[60:61]                           // sgprs -> exec
v_cmp_ne_u64 s[50:51], v[28:29], v[30:31]          // c read during atomic != c read during prior load
s_and_b64 s[60:61], s[50:51], s[60:61]             // inBounds & must try again

/* or masks to check for exit */
s_mov_b64 s[50:51], 0x0                            // empty mask
s_or_b64 s[50:51], s[54:55], s[50:51]              // or to add threads
s_or_b64 s[50:51], s[56:57], s[50:51]              // or to add threads
	;; [unrolled: 1-line block ×4, first 2 shown]
s_or_saveexec_b64 s[52:53], s[50:51]               // apply combined mask
s_cbranch_execz label_0136                         // if exec is zero skip loop

/* atomic CAS loop */
label_0135:

/* apply updated masks and issue writes again */
s_mov_b64 exec, s[54:55]                           // must try again
v_mov_b32 v10, v8                                  // dataV+2 = tmp (new original C)
v_mov_b32 v11, v9                                  // dataV+3 = tmp (new original C)
v_add_f64 v[8:9], v[10:11], v[vgprValuC+16:vgprValuC+16+1] // newC = rC + originalC
_buffer_atomic_cmpswap_b64 v[8:11], v6, s[sgprSrdD:sgprSrdD+3] 0 offen offset:0 glc   // attempt write
s_mov_b64 exec, s[56:57]                           // must try again
v_mov_b32 v14, v12                                 // dataV+2 = tmp (new original C)
v_mov_b32 v15, v13                                 // dataV+3 = tmp (new original C)
v_add_f64 v[12:13], v[14:15], v[vgprValuC+18:vgprValuC+18+1] // newC = rC + originalC
_buffer_atomic_cmpswap_b64 v[12:15], v6, s[sgprSrdD:sgprSrdD+3] 0 offen offset:8 glc   // attempt write
s_mov_b64 exec, s[58:59]                           // must try again
v_mov_b32 v26, v24                                 // dataV+2 = tmp (new original C)
v_mov_b32 v27, v25                                 // dataV+3 = tmp (new original C)
v_add_f64 v[24:25], v[26:27], v[vgprValuC+20:vgprValuC+20+1] // newC = rC + originalC
_buffer_atomic_cmpswap_b64 v[24:27], v7, s[sgprSrdD:sgprSrdD+3] 0 offen offset:0 glc   // attempt write
s_mov_b64 exec, s[60:61]                           // must try again
v_mov_b32 v30, v28                                 // dataV+2 = tmp (new original C)
v_mov_b32 v31, v29                                 // dataV+3 = tmp (new original C)
v_add_f64 v[28:29], v[30:31], v[vgprValuC+22:vgprValuC+22+1] // newC = rC + originalC
_buffer_atomic_cmpswap_b64 v[28:31], v7, s[sgprSrdD:sgprSrdD+3] 0 offen offset:8 glc   // attempt write
s_waitcnt vmcnt(0)                                 // wait for atomic writes

/* apply masks and check for success */
s_mov_b64 exec, s[54:55]                           // must try again
v_cmp_ne_u64 s[50:51], v[8:9], v[10:11]            // c read during atomic != c read during prior load
s_and_b64 s[54:55], s[50:51], s[54:55]             // inBounds & must try again
s_mov_b64 exec, s[56:57]                           // must try again
v_cmp_ne_u64 s[50:51], v[12:13], v[14:15]          // c read during atomic != c read during prior load
s_and_b64 s[56:57], s[50:51], s[56:57]             // inBounds & must try again
s_mov_b64 exec, s[58:59]                           // must try again
v_cmp_ne_u64 s[50:51], v[24:25], v[26:27]          // c read during atomic != c read during prior load
	;; [unrolled: 3-line block ×3, first 2 shown]
s_and_b64 s[60:61], s[50:51], s[60:61]             // inBounds & must try again

/* or masks to check for exit */
s_mov_b64 s[50:51], 0x0                            // empty mask
s_or_b64 s[50:51], s[54:55], s[50:51]              // or to add threads
s_or_b64 s[50:51], s[56:57], s[50:51]              // or to add threads
	;; [unrolled: 1-line block ×4, first 2 shown]
s_or_saveexec_b64 s[52:53], s[50:51]               // apply combined mask
s_cbranch_execnz label_0135                        // try again if not complete
label_0136:
s_mov_b64 exec, -1                                 // full mask -> exec
s_nop 0                                            // 1 wait state required when next inst writes vgprs held by previous dwordx4 store inst
/* optSingleColVgpr=0 optSharedColVgpr=0 optSGPRUsage=None optSrdIncForRow=0 */
s_sleep 1 // optimization: sync and wait
s_barrier

/******************************************/
/* Global Write Alpha Edge Batch #21 (d1,d0,vc1,vc0) = */
/*    (21,0,0,0:vw2:vaw:1); (21,1,0,0:vw2:vaw:1) */
/******************************************/

/* calc coords, apply mask, and issue loads (if necessary) */
/* (d1,vc1,d0,vc0)=(21,0,0,0) */
_v_add_co_u32 v1, vcc, v1, 4                       // coord1.1: coord1Vgpr += d1*sg1*VW + vc1

/* Fix for UseInitialStridesCD, emitAddressSetupCode */
s_mul_i32 s50, s[sgprStrideC1J], 4                 // scale stride
_v_add_u32 v2, v2, s50                             // ROWINC- Move cinRowPtr to next row
s_mul_i32 s50, s[sgprStrideD1J], 4                 // scale stride
_v_add_u32 v3, v3, s50                             // Move coutRowPtr to next row
v_cmp_lt_u32 s[50:51], v0, s[sgprSizeI]            // coord0 < size0
v_cmp_lt_u32 s[54:55], v1, s[sgprSizeJ]            // coord1 < size1
s_and_b64 s[54:55], s[50:51], s[54:55]             // in0 && in1
_v_add_lshl_u32 v6, v3, v0, 0x3                    // scaleToBpe: accumulate d0 lower and *= bpe into Cin addr
v_cndmask_b32 v6, -1, v6, s[54:55]                 // LDD clip if OOB. offset
_buffer_load_b128 v[12:15], v6, s[sgprSrdD:sgprSrdD+3], 0, offen offset:0 // load D (atomic) bpm=16 vaw=1
/* (d1,vc1,d0,vc0)=(21,0,1,0) */
s_mov_b32 s50, 128                                 // coordOffset0 d0=1 vc0=0
_v_add_co_u32 v4, vcc, v0, s50                     // coord0.2: coord0 += d0*sg0*VW + vc0
v_cmp_lt_u32 s[50:51], v4, s[sgprSizeI]            // coord0 < size0
v_cmp_lt_u32 s[58:59], v1, s[sgprSizeJ]            // coord1 < size1
s_and_b64 s[58:59], s[50:51], s[58:59]             // in0 && in1
_v_add_lshl_u32 v7, v3, v4, 0x3                    // scaleToBpe: accumulate d0 lower and *= bpe into Cin addr
v_cndmask_b32 v7, -1, v7, s[58:59]                 // LDD clip if OOB. offset
_buffer_load_b128 v[28:31], v7, s[sgprSrdD:sgprSrdD+3], 0, offen offset:0 // load D (atomic) bpm=16 vaw=1
v_accvgpr_read_b32 v[vgprValuC+16], acc162 // copy acc to vreg[168]
v_accvgpr_read_b32 v[vgprValuC+17], acc163 // copy acc to vreg[169]
v_accvgpr_read_b32 v[vgprValuC+18], acc170 // copy acc to vreg[170]
v_accvgpr_read_b32 v[vgprValuC+19], acc171 // copy acc to vreg[171]
v_accvgpr_read_b32 v[vgprValuC+20], acc178 // copy acc to vreg[172]
v_accvgpr_read_b32 v[vgprValuC+21], acc179 // copy acc to vreg[173]
v_accvgpr_read_b32 v[vgprValuC+22], acc186 // copy acc to vreg[174]
v_accvgpr_read_b32 v[vgprValuC+23], acc187 // copy acc to vreg[175]
s_nop 1                                            // 2 wait states required before reading vgpr

/* rC *= alpha batchElements=[(21, 0, 0, 0), (21, 1, 0, 0)] */
v_mul_f64 v[vgprValuC+16:vgprValuC+16+1], s[sgprAlpha:sgprAlpha+1], v[vgprValuC+16:vgprValuC+16+1] // *= alpha
v_mul_f64 v[vgprValuC+18:vgprValuC+18+1], s[sgprAlpha:sgprAlpha+1], v[vgprValuC+18:vgprValuC+18+1] // *= alpha
	;; [unrolled: 1-line block ×4, first 2 shown]
s_waitcnt vmcnt(0)                                 // wait C (atomic)

/* issue first atomic writes */
s_mov_b64 exec, s[54:55]                           // sgprs -> exec (before atomic)
v_mov_b32 v10, v12                                 // v_mov for reordering loaded data
v_mov_b32 v11, v13                                 // v_mov for reordering loaded data
v_add_f64 v[8:9], v[10:11], v[vgprValuC+16:vgprValuC+16+1] // desired value
_buffer_atomic_cmpswap_b64 v[8:11], v6, s[sgprSrdD:sgprSrdD+3] 0 offen offset:0 glc   // attempt write
v_add_f64 v[12:13], v[14:15], v[vgprValuC+18:vgprValuC+18+1] // desired value
_buffer_atomic_cmpswap_b64 v[12:15], v6, s[sgprSrdD:sgprSrdD+3] 0 offen offset:8 glc   // attempt write
s_mov_b64 exec, s[58:59]                           // sgprs -> exec (before atomic)
v_mov_b32 v26, v28                                 // v_mov for reordering loaded data
v_mov_b32 v27, v29                                 // v_mov for reordering loaded data
v_add_f64 v[24:25], v[26:27], v[vgprValuC+20:vgprValuC+20+1] // desired value
_buffer_atomic_cmpswap_b64 v[24:27], v7, s[sgprSrdD:sgprSrdD+3] 0 offen offset:0 glc   // attempt write
v_add_f64 v[28:29], v[30:31], v[vgprValuC+22:vgprValuC+22+1] // desired value
_buffer_atomic_cmpswap_b64 v[28:31], v7, s[sgprSrdD:sgprSrdD+3] 0 offen offset:8 glc   // attempt write
s_mov_b64 s[56:57], s[54:55]                       // copy out of range mask from the first one
s_mov_b64 s[60:61], s[58:59]                       // copy out of range mask from the first one
s_waitcnt vmcnt(0)                                 // wait for atomic writes

/* check success of writes, update masks */
s_mov_b64 exec, s[54:55]                           // sgprs -> exec
v_cmp_ne_u64 s[50:51], v[8:9], v[10:11]            // c read during atomic != c read during prior load
s_and_b64 s[54:55], s[50:51], s[54:55]             // inBounds & must try again
s_mov_b64 exec, s[56:57]                           // sgprs -> exec
v_cmp_ne_u64 s[50:51], v[12:13], v[14:15]          // c read during atomic != c read during prior load
s_and_b64 s[56:57], s[50:51], s[56:57]             // inBounds & must try again
s_mov_b64 exec, s[58:59]                           // sgprs -> exec
v_cmp_ne_u64 s[50:51], v[24:25], v[26:27]          // c read during atomic != c read during prior load
s_and_b64 s[58:59], s[50:51], s[58:59]             // inBounds & must try again
s_mov_b64 exec, s[60:61]                           // sgprs -> exec
v_cmp_ne_u64 s[50:51], v[28:29], v[30:31]          // c read during atomic != c read during prior load
s_and_b64 s[60:61], s[50:51], s[60:61]             // inBounds & must try again

/* or masks to check for exit */
s_mov_b64 s[50:51], 0x0                            // empty mask
s_or_b64 s[50:51], s[54:55], s[50:51]              // or to add threads
s_or_b64 s[50:51], s[56:57], s[50:51]              // or to add threads
	;; [unrolled: 1-line block ×4, first 2 shown]
s_or_saveexec_b64 s[52:53], s[50:51]               // apply combined mask
s_cbranch_execz label_0138                         // if exec is zero skip loop

/* atomic CAS loop */
label_0137:

/* apply updated masks and issue writes again */
s_mov_b64 exec, s[54:55]                           // must try again
v_mov_b32 v10, v8                                  // dataV+2 = tmp (new original C)
v_mov_b32 v11, v9                                  // dataV+3 = tmp (new original C)
v_add_f64 v[8:9], v[10:11], v[vgprValuC+16:vgprValuC+16+1] // newC = rC + originalC
_buffer_atomic_cmpswap_b64 v[8:11], v6, s[sgprSrdD:sgprSrdD+3] 0 offen offset:0 glc   // attempt write
s_mov_b64 exec, s[56:57]                           // must try again
v_mov_b32 v14, v12                                 // dataV+2 = tmp (new original C)
v_mov_b32 v15, v13                                 // dataV+3 = tmp (new original C)
v_add_f64 v[12:13], v[14:15], v[vgprValuC+18:vgprValuC+18+1] // newC = rC + originalC
_buffer_atomic_cmpswap_b64 v[12:15], v6, s[sgprSrdD:sgprSrdD+3] 0 offen offset:8 glc   // attempt write
s_mov_b64 exec, s[58:59]                           // must try again
v_mov_b32 v26, v24                                 // dataV+2 = tmp (new original C)
v_mov_b32 v27, v25                                 // dataV+3 = tmp (new original C)
	;; [unrolled: 5-line block ×3, first 2 shown]
v_add_f64 v[28:29], v[30:31], v[vgprValuC+22:vgprValuC+22+1] // newC = rC + originalC
_buffer_atomic_cmpswap_b64 v[28:31], v7, s[sgprSrdD:sgprSrdD+3] 0 offen offset:8 glc   // attempt write
s_waitcnt vmcnt(0)                                 // wait for atomic writes

/* apply masks and check for success */
s_mov_b64 exec, s[54:55]                           // must try again
v_cmp_ne_u64 s[50:51], v[8:9], v[10:11]            // c read during atomic != c read during prior load
s_and_b64 s[54:55], s[50:51], s[54:55]             // inBounds & must try again
s_mov_b64 exec, s[56:57]                           // must try again
v_cmp_ne_u64 s[50:51], v[12:13], v[14:15]          // c read during atomic != c read during prior load
s_and_b64 s[56:57], s[50:51], s[56:57]             // inBounds & must try again
s_mov_b64 exec, s[58:59]                           // must try again
v_cmp_ne_u64 s[50:51], v[24:25], v[26:27]          // c read during atomic != c read during prior load
	;; [unrolled: 3-line block ×3, first 2 shown]
s_and_b64 s[60:61], s[50:51], s[60:61]             // inBounds & must try again

/* or masks to check for exit */
s_mov_b64 s[50:51], 0x0                            // empty mask
s_or_b64 s[50:51], s[54:55], s[50:51]              // or to add threads
s_or_b64 s[50:51], s[56:57], s[50:51]              // or to add threads
	;; [unrolled: 1-line block ×4, first 2 shown]
s_or_saveexec_b64 s[52:53], s[50:51]               // apply combined mask
s_cbranch_execnz label_0137                        // try again if not complete
label_0138:
s_mov_b64 exec, -1                                 // full mask -> exec
s_nop 0                                            // 1 wait state required when next inst writes vgprs held by previous dwordx4 store inst
/* optSingleColVgpr=0 optSharedColVgpr=0 optSGPRUsage=None optSrdIncForRow=0 */
s_sleep 1 // optimization: sync and wait
s_barrier

/******************************************/
/* Global Write Alpha Edge Batch #22 (d1,d0,vc1,vc0) = */
/*    (22,0,0,0:vw2:vaw:1); (22,1,0,0:vw2:vaw:1) */
/******************************************/

/* calc coords, apply mask, and issue loads (if necessary) */
/* (d1,vc1,d0,vc0)=(22,0,0,0) */
_v_add_co_u32 v1, vcc, v1, 4                       // coord1.1: coord1Vgpr += d1*sg1*VW + vc1

/* Fix for UseInitialStridesCD, emitAddressSetupCode */
s_mul_i32 s50, s[sgprStrideC1J], 4                 // scale stride
_v_add_u32 v2, v2, s50                             // ROWINC- Move cinRowPtr to next row
s_mul_i32 s50, s[sgprStrideD1J], 4                 // scale stride
_v_add_u32 v3, v3, s50                             // Move coutRowPtr to next row
v_cmp_lt_u32 s[50:51], v0, s[sgprSizeI]            // coord0 < size0
v_cmp_lt_u32 s[54:55], v1, s[sgprSizeJ]            // coord1 < size1
s_and_b64 s[54:55], s[50:51], s[54:55]             // in0 && in1
_v_add_lshl_u32 v6, v3, v0, 0x3                    // scaleToBpe: accumulate d0 lower and *= bpe into Cin addr
v_cndmask_b32 v6, -1, v6, s[54:55]                 // LDD clip if OOB. offset
_buffer_load_b128 v[12:15], v6, s[sgprSrdD:sgprSrdD+3], 0, offen offset:0 // load D (atomic) bpm=16 vaw=1
/* (d1,vc1,d0,vc0)=(22,0,1,0) */
s_mov_b32 s50, 128                                 // coordOffset0 d0=1 vc0=0
_v_add_co_u32 v4, vcc, v0, s50                     // coord0.2: coord0 += d0*sg0*VW + vc0
v_cmp_lt_u32 s[50:51], v4, s[sgprSizeI]            // coord0 < size0
v_cmp_lt_u32 s[58:59], v1, s[sgprSizeJ]            // coord1 < size1
s_and_b64 s[58:59], s[50:51], s[58:59]             // in0 && in1
_v_add_lshl_u32 v7, v3, v4, 0x3                    // scaleToBpe: accumulate d0 lower and *= bpe into Cin addr
v_cndmask_b32 v7, -1, v7, s[58:59]                 // LDD clip if OOB. offset
_buffer_load_b128 v[28:31], v7, s[sgprSrdD:sgprSrdD+3], 0, offen offset:0 // load D (atomic) bpm=16 vaw=1
v_accvgpr_read_b32 v[vgprValuC+16], acc164 // copy acc to vreg[176]
v_accvgpr_read_b32 v[vgprValuC+17], acc165 // copy acc to vreg[177]
v_accvgpr_read_b32 v[vgprValuC+18], acc172 // copy acc to vreg[178]
v_accvgpr_read_b32 v[vgprValuC+19], acc173 // copy acc to vreg[179]
v_accvgpr_read_b32 v[vgprValuC+20], acc180 // copy acc to vreg[180]
v_accvgpr_read_b32 v[vgprValuC+21], acc181 // copy acc to vreg[181]
v_accvgpr_read_b32 v[vgprValuC+22], acc188 // copy acc to vreg[182]
v_accvgpr_read_b32 v[vgprValuC+23], acc189 // copy acc to vreg[183]
s_nop 1                                            // 2 wait states required before reading vgpr

/* rC *= alpha batchElements=[(22, 0, 0, 0), (22, 1, 0, 0)] */
v_mul_f64 v[vgprValuC+16:vgprValuC+16+1], s[sgprAlpha:sgprAlpha+1], v[vgprValuC+16:vgprValuC+16+1] // *= alpha
v_mul_f64 v[vgprValuC+18:vgprValuC+18+1], s[sgprAlpha:sgprAlpha+1], v[vgprValuC+18:vgprValuC+18+1] // *= alpha
	;; [unrolled: 1-line block ×4, first 2 shown]
s_waitcnt vmcnt(0)                                 // wait C (atomic)

/* issue first atomic writes */
s_mov_b64 exec, s[54:55]                           // sgprs -> exec (before atomic)
v_mov_b32 v10, v12                                 // v_mov for reordering loaded data
v_mov_b32 v11, v13                                 // v_mov for reordering loaded data
v_add_f64 v[8:9], v[10:11], v[vgprValuC+16:vgprValuC+16+1] // desired value
_buffer_atomic_cmpswap_b64 v[8:11], v6, s[sgprSrdD:sgprSrdD+3] 0 offen offset:0 glc   // attempt write
v_add_f64 v[12:13], v[14:15], v[vgprValuC+18:vgprValuC+18+1] // desired value
_buffer_atomic_cmpswap_b64 v[12:15], v6, s[sgprSrdD:sgprSrdD+3] 0 offen offset:8 glc   // attempt write
s_mov_b64 exec, s[58:59]                           // sgprs -> exec (before atomic)
v_mov_b32 v26, v28                                 // v_mov for reordering loaded data
v_mov_b32 v27, v29                                 // v_mov for reordering loaded data
v_add_f64 v[24:25], v[26:27], v[vgprValuC+20:vgprValuC+20+1] // desired value
_buffer_atomic_cmpswap_b64 v[24:27], v7, s[sgprSrdD:sgprSrdD+3] 0 offen offset:0 glc   // attempt write
v_add_f64 v[28:29], v[30:31], v[vgprValuC+22:vgprValuC+22+1] // desired value
_buffer_atomic_cmpswap_b64 v[28:31], v7, s[sgprSrdD:sgprSrdD+3] 0 offen offset:8 glc   // attempt write
s_mov_b64 s[56:57], s[54:55]                       // copy out of range mask from the first one
s_mov_b64 s[60:61], s[58:59]                       // copy out of range mask from the first one
s_waitcnt vmcnt(0)                                 // wait for atomic writes

/* check success of writes, update masks */
s_mov_b64 exec, s[54:55]                           // sgprs -> exec
v_cmp_ne_u64 s[50:51], v[8:9], v[10:11]            // c read during atomic != c read during prior load
s_and_b64 s[54:55], s[50:51], s[54:55]             // inBounds & must try again
s_mov_b64 exec, s[56:57]                           // sgprs -> exec
v_cmp_ne_u64 s[50:51], v[12:13], v[14:15]          // c read during atomic != c read during prior load
s_and_b64 s[56:57], s[50:51], s[56:57]             // inBounds & must try again
s_mov_b64 exec, s[58:59]                           // sgprs -> exec
v_cmp_ne_u64 s[50:51], v[24:25], v[26:27]          // c read during atomic != c read during prior load
	;; [unrolled: 3-line block ×3, first 2 shown]
s_and_b64 s[60:61], s[50:51], s[60:61]             // inBounds & must try again

/* or masks to check for exit */
s_mov_b64 s[50:51], 0x0                            // empty mask
s_or_b64 s[50:51], s[54:55], s[50:51]              // or to add threads
s_or_b64 s[50:51], s[56:57], s[50:51]              // or to add threads
	;; [unrolled: 1-line block ×4, first 2 shown]
s_or_saveexec_b64 s[52:53], s[50:51]               // apply combined mask
s_cbranch_execz label_0140                         // if exec is zero skip loop

/* atomic CAS loop */
label_0139:

/* apply updated masks and issue writes again */
s_mov_b64 exec, s[54:55]                           // must try again
v_mov_b32 v10, v8                                  // dataV+2 = tmp (new original C)
v_mov_b32 v11, v9                                  // dataV+3 = tmp (new original C)
v_add_f64 v[8:9], v[10:11], v[vgprValuC+16:vgprValuC+16+1] // newC = rC + originalC
_buffer_atomic_cmpswap_b64 v[8:11], v6, s[sgprSrdD:sgprSrdD+3] 0 offen offset:0 glc   // attempt write
s_mov_b64 exec, s[56:57]                           // must try again
v_mov_b32 v14, v12                                 // dataV+2 = tmp (new original C)
v_mov_b32 v15, v13                                 // dataV+3 = tmp (new original C)
v_add_f64 v[12:13], v[14:15], v[vgprValuC+18:vgprValuC+18+1] // newC = rC + originalC
_buffer_atomic_cmpswap_b64 v[12:15], v6, s[sgprSrdD:sgprSrdD+3] 0 offen offset:8 glc   // attempt write
s_mov_b64 exec, s[58:59]                           // must try again
v_mov_b32 v26, v24                                 // dataV+2 = tmp (new original C)
v_mov_b32 v27, v25                                 // dataV+3 = tmp (new original C)
	;; [unrolled: 5-line block ×3, first 2 shown]
v_add_f64 v[28:29], v[30:31], v[vgprValuC+22:vgprValuC+22+1] // newC = rC + originalC
_buffer_atomic_cmpswap_b64 v[28:31], v7, s[sgprSrdD:sgprSrdD+3] 0 offen offset:8 glc   // attempt write
s_waitcnt vmcnt(0)                                 // wait for atomic writes

/* apply masks and check for success */
s_mov_b64 exec, s[54:55]                           // must try again
v_cmp_ne_u64 s[50:51], v[8:9], v[10:11]            // c read during atomic != c read during prior load
s_and_b64 s[54:55], s[50:51], s[54:55]             // inBounds & must try again
s_mov_b64 exec, s[56:57]                           // must try again
v_cmp_ne_u64 s[50:51], v[12:13], v[14:15]          // c read during atomic != c read during prior load
s_and_b64 s[56:57], s[50:51], s[56:57]             // inBounds & must try again
s_mov_b64 exec, s[58:59]                           // must try again
v_cmp_ne_u64 s[50:51], v[24:25], v[26:27]          // c read during atomic != c read during prior load
	;; [unrolled: 3-line block ×3, first 2 shown]
s_and_b64 s[60:61], s[50:51], s[60:61]             // inBounds & must try again

/* or masks to check for exit */
s_mov_b64 s[50:51], 0x0                            // empty mask
s_or_b64 s[50:51], s[54:55], s[50:51]              // or to add threads
s_or_b64 s[50:51], s[56:57], s[50:51]              // or to add threads
s_or_b64 s[50:51], s[58:59], s[50:51]              // or to add threads
s_or_b64 s[50:51], s[60:61], s[50:51]              // or to add threads
s_or_saveexec_b64 s[52:53], s[50:51]               // apply combined mask
s_cbranch_execnz label_0139                        // try again if not complete
label_0140:
s_mov_b64 exec, -1                                 // full mask -> exec
s_nop 0                                            // 1 wait state required when next inst writes vgprs held by previous dwordx4 store inst
/* optSingleColVgpr=0 optSharedColVgpr=0 optSGPRUsage=None optSrdIncForRow=0 */
s_sleep 1 // optimization: sync and wait
s_barrier

/******************************************/
/* Global Write Alpha Edge Batch #23 (d1,d0,vc1,vc0) = */
/*    (23,0,0,0:vw2:vaw:1); (23,1,0,0:vw2:vaw:1) */
/******************************************/

/* calc coords, apply mask, and issue loads (if necessary) */
/* (d1,vc1,d0,vc0)=(23,0,0,0) */
_v_add_co_u32 v1, vcc, v1, 4                       // coord1.1: coord1Vgpr += d1*sg1*VW + vc1

/* Fix for UseInitialStridesCD, emitAddressSetupCode */
s_mul_i32 s50, s[sgprStrideC1J], 4                 // scale stride
_v_add_u32 v2, v2, s50                             // ROWINC- Move cinRowPtr to next row
s_mul_i32 s50, s[sgprStrideD1J], 4                 // scale stride
_v_add_u32 v3, v3, s50                             // Move coutRowPtr to next row
v_cmp_lt_u32 s[50:51], v0, s[sgprSizeI]            // coord0 < size0
v_cmp_lt_u32 s[54:55], v1, s[sgprSizeJ]            // coord1 < size1
s_and_b64 s[54:55], s[50:51], s[54:55]             // in0 && in1
_v_add_lshl_u32 v6, v3, v0, 0x3                    // scaleToBpe: accumulate d0 lower and *= bpe into Cin addr
v_cndmask_b32 v6, -1, v6, s[54:55]                 // LDD clip if OOB. offset
_buffer_load_b128 v[12:15], v6, s[sgprSrdD:sgprSrdD+3], 0, offen offset:0 // load D (atomic) bpm=16 vaw=1
/* (d1,vc1,d0,vc0)=(23,0,1,0) */
s_mov_b32 s50, 128                                 // coordOffset0 d0=1 vc0=0
_v_add_co_u32 v4, vcc, v0, s50                     // coord0.2: coord0 += d0*sg0*VW + vc0
v_cmp_lt_u32 s[50:51], v4, s[sgprSizeI]            // coord0 < size0
v_cmp_lt_u32 s[58:59], v1, s[sgprSizeJ]            // coord1 < size1
s_and_b64 s[58:59], s[50:51], s[58:59]             // in0 && in1
_v_add_lshl_u32 v7, v3, v4, 0x3                    // scaleToBpe: accumulate d0 lower and *= bpe into Cin addr
v_cndmask_b32 v7, -1, v7, s[58:59]                 // LDD clip if OOB. offset
_buffer_load_b128 v[28:31], v7, s[sgprSrdD:sgprSrdD+3], 0, offen offset:0 // load D (atomic) bpm=16 vaw=1
v_accvgpr_read_b32 v[vgprValuC+16], acc166 // copy acc to vreg[184]
v_accvgpr_read_b32 v[vgprValuC+17], acc167 // copy acc to vreg[185]
v_accvgpr_read_b32 v[vgprValuC+18], acc174 // copy acc to vreg[186]
v_accvgpr_read_b32 v[vgprValuC+19], acc175 // copy acc to vreg[187]
v_accvgpr_read_b32 v[vgprValuC+20], acc182 // copy acc to vreg[188]
v_accvgpr_read_b32 v[vgprValuC+21], acc183 // copy acc to vreg[189]
v_accvgpr_read_b32 v[vgprValuC+22], acc190 // copy acc to vreg[190]
v_accvgpr_read_b32 v[vgprValuC+23], acc191 // copy acc to vreg[191]
s_nop 1                                            // 2 wait states required before reading vgpr

/* rC *= alpha batchElements=[(23, 0, 0, 0), (23, 1, 0, 0)] */
v_mul_f64 v[vgprValuC+16:vgprValuC+16+1], s[sgprAlpha:sgprAlpha+1], v[vgprValuC+16:vgprValuC+16+1] // *= alpha
v_mul_f64 v[vgprValuC+18:vgprValuC+18+1], s[sgprAlpha:sgprAlpha+1], v[vgprValuC+18:vgprValuC+18+1] // *= alpha
	;; [unrolled: 1-line block ×4, first 2 shown]
s_waitcnt vmcnt(0)                                 // wait C (atomic)

/* issue first atomic writes */
s_mov_b64 exec, s[54:55]                           // sgprs -> exec (before atomic)
v_mov_b32 v10, v12                                 // v_mov for reordering loaded data
v_mov_b32 v11, v13                                 // v_mov for reordering loaded data
v_add_f64 v[8:9], v[10:11], v[vgprValuC+16:vgprValuC+16+1] // desired value
_buffer_atomic_cmpswap_b64 v[8:11], v6, s[sgprSrdD:sgprSrdD+3] 0 offen offset:0 glc   // attempt write
v_add_f64 v[12:13], v[14:15], v[vgprValuC+18:vgprValuC+18+1] // desired value
_buffer_atomic_cmpswap_b64 v[12:15], v6, s[sgprSrdD:sgprSrdD+3] 0 offen offset:8 glc   // attempt write
s_mov_b64 exec, s[58:59]                           // sgprs -> exec (before atomic)
v_mov_b32 v26, v28                                 // v_mov for reordering loaded data
v_mov_b32 v27, v29                                 // v_mov for reordering loaded data
v_add_f64 v[24:25], v[26:27], v[vgprValuC+20:vgprValuC+20+1] // desired value
_buffer_atomic_cmpswap_b64 v[24:27], v7, s[sgprSrdD:sgprSrdD+3] 0 offen offset:0 glc   // attempt write
v_add_f64 v[28:29], v[30:31], v[vgprValuC+22:vgprValuC+22+1] // desired value
_buffer_atomic_cmpswap_b64 v[28:31], v7, s[sgprSrdD:sgprSrdD+3] 0 offen offset:8 glc   // attempt write
s_mov_b64 s[56:57], s[54:55]                       // copy out of range mask from the first one
s_mov_b64 s[60:61], s[58:59]                       // copy out of range mask from the first one
s_waitcnt vmcnt(0)                                 // wait for atomic writes

/* check success of writes, update masks */
s_mov_b64 exec, s[54:55]                           // sgprs -> exec
v_cmp_ne_u64 s[50:51], v[8:9], v[10:11]            // c read during atomic != c read during prior load
s_and_b64 s[54:55], s[50:51], s[54:55]             // inBounds & must try again
s_mov_b64 exec, s[56:57]                           // sgprs -> exec
v_cmp_ne_u64 s[50:51], v[12:13], v[14:15]          // c read during atomic != c read during prior load
s_and_b64 s[56:57], s[50:51], s[56:57]             // inBounds & must try again
s_mov_b64 exec, s[58:59]                           // sgprs -> exec
v_cmp_ne_u64 s[50:51], v[24:25], v[26:27]          // c read during atomic != c read during prior load
	;; [unrolled: 3-line block ×3, first 2 shown]
s_and_b64 s[60:61], s[50:51], s[60:61]             // inBounds & must try again

/* or masks to check for exit */
s_mov_b64 s[50:51], 0x0                            // empty mask
s_or_b64 s[50:51], s[54:55], s[50:51]              // or to add threads
s_or_b64 s[50:51], s[56:57], s[50:51]              // or to add threads
	;; [unrolled: 1-line block ×4, first 2 shown]
s_or_saveexec_b64 s[52:53], s[50:51]               // apply combined mask
s_cbranch_execz label_0142                         // if exec is zero skip loop

/* atomic CAS loop */
label_0141:

/* apply updated masks and issue writes again */
s_mov_b64 exec, s[54:55]                           // must try again
v_mov_b32 v10, v8                                  // dataV+2 = tmp (new original C)
v_mov_b32 v11, v9                                  // dataV+3 = tmp (new original C)
v_add_f64 v[8:9], v[10:11], v[vgprValuC+16:vgprValuC+16+1] // newC = rC + originalC
_buffer_atomic_cmpswap_b64 v[8:11], v6, s[sgprSrdD:sgprSrdD+3] 0 offen offset:0 glc   // attempt write
s_mov_b64 exec, s[56:57]                           // must try again
v_mov_b32 v14, v12                                 // dataV+2 = tmp (new original C)
v_mov_b32 v15, v13                                 // dataV+3 = tmp (new original C)
v_add_f64 v[12:13], v[14:15], v[vgprValuC+18:vgprValuC+18+1] // newC = rC + originalC
_buffer_atomic_cmpswap_b64 v[12:15], v6, s[sgprSrdD:sgprSrdD+3] 0 offen offset:8 glc   // attempt write
s_mov_b64 exec, s[58:59]                           // must try again
v_mov_b32 v26, v24                                 // dataV+2 = tmp (new original C)
v_mov_b32 v27, v25                                 // dataV+3 = tmp (new original C)
	;; [unrolled: 5-line block ×3, first 2 shown]
v_add_f64 v[28:29], v[30:31], v[vgprValuC+22:vgprValuC+22+1] // newC = rC + originalC
_buffer_atomic_cmpswap_b64 v[28:31], v7, s[sgprSrdD:sgprSrdD+3] 0 offen offset:8 glc   // attempt write
s_waitcnt vmcnt(0)                                 // wait for atomic writes

/* apply masks and check for success */
s_mov_b64 exec, s[54:55]                           // must try again
v_cmp_ne_u64 s[50:51], v[8:9], v[10:11]            // c read during atomic != c read during prior load
s_and_b64 s[54:55], s[50:51], s[54:55]             // inBounds & must try again
s_mov_b64 exec, s[56:57]                           // must try again
v_cmp_ne_u64 s[50:51], v[12:13], v[14:15]          // c read during atomic != c read during prior load
s_and_b64 s[56:57], s[50:51], s[56:57]             // inBounds & must try again
s_mov_b64 exec, s[58:59]                           // must try again
v_cmp_ne_u64 s[50:51], v[24:25], v[26:27]          // c read during atomic != c read during prior load
	;; [unrolled: 3-line block ×3, first 2 shown]
s_and_b64 s[60:61], s[50:51], s[60:61]             // inBounds & must try again

/* or masks to check for exit */
s_mov_b64 s[50:51], 0x0                            // empty mask
s_or_b64 s[50:51], s[54:55], s[50:51]              // or to add threads
s_or_b64 s[50:51], s[56:57], s[50:51]              // or to add threads
	;; [unrolled: 1-line block ×4, first 2 shown]
s_or_saveexec_b64 s[52:53], s[50:51]               // apply combined mask
s_cbranch_execnz label_0141                        // try again if not complete
label_0142:
s_mov_b64 exec, -1                                 // full mask -> exec
s_nop 0                                            // 1 wait state required when next inst writes vgprs held by previous dwordx4 store inst
/* optSingleColVgpr=0 optSharedColVgpr=0 optSGPRUsage=None optSrdIncForRow=0 */
s_sleep 1 // optimization: sync and wait
s_barrier

/******************************************/
/* Global Write Alpha Edge Batch #24 (d1,d0,vc1,vc0) = */
/*    (24,0,0,0:vw2:vaw:1); (24,1,0,0:vw2:vaw:1) */
/******************************************/

/* calc coords, apply mask, and issue loads (if necessary) */
/* (d1,vc1,d0,vc0)=(24,0,0,0) */
_v_add_co_u32 v1, vcc, v1, 4                       // coord1.1: coord1Vgpr += d1*sg1*VW + vc1

/* Fix for UseInitialStridesCD, emitAddressSetupCode */
s_mul_i32 s50, s[sgprStrideC1J], 4                 // scale stride
_v_add_u32 v2, v2, s50                             // ROWINC- Move cinRowPtr to next row
s_mul_i32 s50, s[sgprStrideD1J], 4                 // scale stride
_v_add_u32 v3, v3, s50                             // Move coutRowPtr to next row
v_cmp_lt_u32 s[50:51], v0, s[sgprSizeI]            // coord0 < size0
v_cmp_lt_u32 s[54:55], v1, s[sgprSizeJ]            // coord1 < size1
s_and_b64 s[54:55], s[50:51], s[54:55]             // in0 && in1
_v_add_lshl_u32 v6, v3, v0, 0x3                    // scaleToBpe: accumulate d0 lower and *= bpe into Cin addr
v_cndmask_b32 v6, -1, v6, s[54:55]                 // LDD clip if OOB. offset
_buffer_load_b128 v[12:15], v6, s[sgprSrdD:sgprSrdD+3], 0, offen offset:0 // load D (atomic) bpm=16 vaw=1
/* (d1,vc1,d0,vc0)=(24,0,1,0) */
s_mov_b32 s50, 128                                 // coordOffset0 d0=1 vc0=0
_v_add_co_u32 v4, vcc, v0, s50                     // coord0.2: coord0 += d0*sg0*VW + vc0
v_cmp_lt_u32 s[50:51], v4, s[sgprSizeI]            // coord0 < size0
v_cmp_lt_u32 s[58:59], v1, s[sgprSizeJ]            // coord1 < size1
s_and_b64 s[58:59], s[50:51], s[58:59]             // in0 && in1
_v_add_lshl_u32 v7, v3, v4, 0x3                    // scaleToBpe: accumulate d0 lower and *= bpe into Cin addr
v_cndmask_b32 v7, -1, v7, s[58:59]                 // LDD clip if OOB. offset
_buffer_load_b128 v[28:31], v7, s[sgprSrdD:sgprSrdD+3], 0, offen offset:0 // load D (atomic) bpm=16 vaw=1
v_accvgpr_read_b32 v[vgprValuC+16], acc192 // copy acc to vreg[192]
v_accvgpr_read_b32 v[vgprValuC+17], acc193 // copy acc to vreg[193]
v_accvgpr_read_b32 v[vgprValuC+18], acc200 // copy acc to vreg[194]
v_accvgpr_read_b32 v[vgprValuC+19], acc201 // copy acc to vreg[195]
v_accvgpr_read_b32 v[vgprValuC+20], acc208 // copy acc to vreg[196]
v_accvgpr_read_b32 v[vgprValuC+21], acc209 // copy acc to vreg[197]
v_accvgpr_read_b32 v[vgprValuC+22], acc216 // copy acc to vreg[198]
v_accvgpr_read_b32 v[vgprValuC+23], acc217 // copy acc to vreg[199]
s_nop 1                                            // 2 wait states required before reading vgpr

/* rC *= alpha batchElements=[(24, 0, 0, 0), (24, 1, 0, 0)] */
v_mul_f64 v[vgprValuC+16:vgprValuC+16+1], s[sgprAlpha:sgprAlpha+1], v[vgprValuC+16:vgprValuC+16+1] // *= alpha
v_mul_f64 v[vgprValuC+18:vgprValuC+18+1], s[sgprAlpha:sgprAlpha+1], v[vgprValuC+18:vgprValuC+18+1] // *= alpha
	;; [unrolled: 1-line block ×4, first 2 shown]
s_waitcnt vmcnt(0)                                 // wait C (atomic)

/* issue first atomic writes */
s_mov_b64 exec, s[54:55]                           // sgprs -> exec (before atomic)
v_mov_b32 v10, v12                                 // v_mov for reordering loaded data
v_mov_b32 v11, v13                                 // v_mov for reordering loaded data
v_add_f64 v[8:9], v[10:11], v[vgprValuC+16:vgprValuC+16+1] // desired value
_buffer_atomic_cmpswap_b64 v[8:11], v6, s[sgprSrdD:sgprSrdD+3] 0 offen offset:0 glc   // attempt write
v_add_f64 v[12:13], v[14:15], v[vgprValuC+18:vgprValuC+18+1] // desired value
_buffer_atomic_cmpswap_b64 v[12:15], v6, s[sgprSrdD:sgprSrdD+3] 0 offen offset:8 glc   // attempt write
s_mov_b64 exec, s[58:59]                           // sgprs -> exec (before atomic)
v_mov_b32 v26, v28                                 // v_mov for reordering loaded data
v_mov_b32 v27, v29                                 // v_mov for reordering loaded data
v_add_f64 v[24:25], v[26:27], v[vgprValuC+20:vgprValuC+20+1] // desired value
_buffer_atomic_cmpswap_b64 v[24:27], v7, s[sgprSrdD:sgprSrdD+3] 0 offen offset:0 glc   // attempt write
v_add_f64 v[28:29], v[30:31], v[vgprValuC+22:vgprValuC+22+1] // desired value
_buffer_atomic_cmpswap_b64 v[28:31], v7, s[sgprSrdD:sgprSrdD+3] 0 offen offset:8 glc   // attempt write
s_mov_b64 s[56:57], s[54:55]                       // copy out of range mask from the first one
s_mov_b64 s[60:61], s[58:59]                       // copy out of range mask from the first one
s_waitcnt vmcnt(0)                                 // wait for atomic writes

/* check success of writes, update masks */
s_mov_b64 exec, s[54:55]                           // sgprs -> exec
v_cmp_ne_u64 s[50:51], v[8:9], v[10:11]            // c read during atomic != c read during prior load
s_and_b64 s[54:55], s[50:51], s[54:55]             // inBounds & must try again
s_mov_b64 exec, s[56:57]                           // sgprs -> exec
v_cmp_ne_u64 s[50:51], v[12:13], v[14:15]          // c read during atomic != c read during prior load
s_and_b64 s[56:57], s[50:51], s[56:57]             // inBounds & must try again
s_mov_b64 exec, s[58:59]                           // sgprs -> exec
v_cmp_ne_u64 s[50:51], v[24:25], v[26:27]          // c read during atomic != c read during prior load
	;; [unrolled: 3-line block ×3, first 2 shown]
s_and_b64 s[60:61], s[50:51], s[60:61]             // inBounds & must try again

/* or masks to check for exit */
s_mov_b64 s[50:51], 0x0                            // empty mask
s_or_b64 s[50:51], s[54:55], s[50:51]              // or to add threads
s_or_b64 s[50:51], s[56:57], s[50:51]              // or to add threads
	;; [unrolled: 1-line block ×4, first 2 shown]
s_or_saveexec_b64 s[52:53], s[50:51]               // apply combined mask
s_cbranch_execz label_0144                         // if exec is zero skip loop

/* atomic CAS loop */
label_0143:

/* apply updated masks and issue writes again */
s_mov_b64 exec, s[54:55]                           // must try again
v_mov_b32 v10, v8                                  // dataV+2 = tmp (new original C)
v_mov_b32 v11, v9                                  // dataV+3 = tmp (new original C)
v_add_f64 v[8:9], v[10:11], v[vgprValuC+16:vgprValuC+16+1] // newC = rC + originalC
_buffer_atomic_cmpswap_b64 v[8:11], v6, s[sgprSrdD:sgprSrdD+3] 0 offen offset:0 glc   // attempt write
s_mov_b64 exec, s[56:57]                           // must try again
v_mov_b32 v14, v12                                 // dataV+2 = tmp (new original C)
v_mov_b32 v15, v13                                 // dataV+3 = tmp (new original C)
v_add_f64 v[12:13], v[14:15], v[vgprValuC+18:vgprValuC+18+1] // newC = rC + originalC
_buffer_atomic_cmpswap_b64 v[12:15], v6, s[sgprSrdD:sgprSrdD+3] 0 offen offset:8 glc   // attempt write
s_mov_b64 exec, s[58:59]                           // must try again
v_mov_b32 v26, v24                                 // dataV+2 = tmp (new original C)
v_mov_b32 v27, v25                                 // dataV+3 = tmp (new original C)
	;; [unrolled: 5-line block ×3, first 2 shown]
v_add_f64 v[28:29], v[30:31], v[vgprValuC+22:vgprValuC+22+1] // newC = rC + originalC
_buffer_atomic_cmpswap_b64 v[28:31], v7, s[sgprSrdD:sgprSrdD+3] 0 offen offset:8 glc   // attempt write
s_waitcnt vmcnt(0)                                 // wait for atomic writes

/* apply masks and check for success */
s_mov_b64 exec, s[54:55]                           // must try again
v_cmp_ne_u64 s[50:51], v[8:9], v[10:11]            // c read during atomic != c read during prior load
s_and_b64 s[54:55], s[50:51], s[54:55]             // inBounds & must try again
s_mov_b64 exec, s[56:57]                           // must try again
v_cmp_ne_u64 s[50:51], v[12:13], v[14:15]          // c read during atomic != c read during prior load
s_and_b64 s[56:57], s[50:51], s[56:57]             // inBounds & must try again
s_mov_b64 exec, s[58:59]                           // must try again
v_cmp_ne_u64 s[50:51], v[24:25], v[26:27]          // c read during atomic != c read during prior load
	;; [unrolled: 3-line block ×3, first 2 shown]
s_and_b64 s[60:61], s[50:51], s[60:61]             // inBounds & must try again

/* or masks to check for exit */
s_mov_b64 s[50:51], 0x0                            // empty mask
s_or_b64 s[50:51], s[54:55], s[50:51]              // or to add threads
s_or_b64 s[50:51], s[56:57], s[50:51]              // or to add threads
	;; [unrolled: 1-line block ×4, first 2 shown]
s_or_saveexec_b64 s[52:53], s[50:51]               // apply combined mask
s_cbranch_execnz label_0143                        // try again if not complete
label_0144:
s_mov_b64 exec, -1                                 // full mask -> exec
s_nop 0                                            // 1 wait state required when next inst writes vgprs held by previous dwordx4 store inst
/* optSingleColVgpr=0 optSharedColVgpr=0 optSGPRUsage=None optSrdIncForRow=0 */
s_sleep 1 // optimization: sync and wait
s_barrier

/******************************************/
/* Global Write Alpha Edge Batch #25 (d1,d0,vc1,vc0) = */
/*    (25,0,0,0:vw2:vaw:1); (25,1,0,0:vw2:vaw:1) */
/******************************************/

/* calc coords, apply mask, and issue loads (if necessary) */
/* (d1,vc1,d0,vc0)=(25,0,0,0) */
_v_add_co_u32 v1, vcc, v1, 4                       // coord1.1: coord1Vgpr += d1*sg1*VW + vc1

/* Fix for UseInitialStridesCD, emitAddressSetupCode */
s_mul_i32 s50, s[sgprStrideC1J], 4                 // scale stride
_v_add_u32 v2, v2, s50                             // ROWINC- Move cinRowPtr to next row
s_mul_i32 s50, s[sgprStrideD1J], 4                 // scale stride
_v_add_u32 v3, v3, s50                             // Move coutRowPtr to next row
v_cmp_lt_u32 s[50:51], v0, s[sgprSizeI]            // coord0 < size0
v_cmp_lt_u32 s[54:55], v1, s[sgprSizeJ]            // coord1 < size1
s_and_b64 s[54:55], s[50:51], s[54:55]             // in0 && in1
_v_add_lshl_u32 v6, v3, v0, 0x3                    // scaleToBpe: accumulate d0 lower and *= bpe into Cin addr
v_cndmask_b32 v6, -1, v6, s[54:55]                 // LDD clip if OOB. offset
_buffer_load_b128 v[12:15], v6, s[sgprSrdD:sgprSrdD+3], 0, offen offset:0 // load D (atomic) bpm=16 vaw=1
/* (d1,vc1,d0,vc0)=(25,0,1,0) */
s_mov_b32 s50, 128                                 // coordOffset0 d0=1 vc0=0
_v_add_co_u32 v4, vcc, v0, s50                     // coord0.2: coord0 += d0*sg0*VW + vc0
v_cmp_lt_u32 s[50:51], v4, s[sgprSizeI]            // coord0 < size0
v_cmp_lt_u32 s[58:59], v1, s[sgprSizeJ]            // coord1 < size1
s_and_b64 s[58:59], s[50:51], s[58:59]             // in0 && in1
_v_add_lshl_u32 v7, v3, v4, 0x3                    // scaleToBpe: accumulate d0 lower and *= bpe into Cin addr
v_cndmask_b32 v7, -1, v7, s[58:59]                 // LDD clip if OOB. offset
_buffer_load_b128 v[28:31], v7, s[sgprSrdD:sgprSrdD+3], 0, offen offset:0 // load D (atomic) bpm=16 vaw=1
v_accvgpr_read_b32 v[vgprValuC+16], acc194 // copy acc to vreg[200]
v_accvgpr_read_b32 v[vgprValuC+17], acc195 // copy acc to vreg[201]
v_accvgpr_read_b32 v[vgprValuC+18], acc202 // copy acc to vreg[202]
v_accvgpr_read_b32 v[vgprValuC+19], acc203 // copy acc to vreg[203]
v_accvgpr_read_b32 v[vgprValuC+20], acc210 // copy acc to vreg[204]
v_accvgpr_read_b32 v[vgprValuC+21], acc211 // copy acc to vreg[205]
v_accvgpr_read_b32 v[vgprValuC+22], acc218 // copy acc to vreg[206]
v_accvgpr_read_b32 v[vgprValuC+23], acc219 // copy acc to vreg[207]
s_nop 1                                            // 2 wait states required before reading vgpr

/* rC *= alpha batchElements=[(25, 0, 0, 0), (25, 1, 0, 0)] */
v_mul_f64 v[vgprValuC+16:vgprValuC+16+1], s[sgprAlpha:sgprAlpha+1], v[vgprValuC+16:vgprValuC+16+1] // *= alpha
v_mul_f64 v[vgprValuC+18:vgprValuC+18+1], s[sgprAlpha:sgprAlpha+1], v[vgprValuC+18:vgprValuC+18+1] // *= alpha
	;; [unrolled: 1-line block ×4, first 2 shown]
s_waitcnt vmcnt(0)                                 // wait C (atomic)

/* issue first atomic writes */
s_mov_b64 exec, s[54:55]                           // sgprs -> exec (before atomic)
v_mov_b32 v10, v12                                 // v_mov for reordering loaded data
v_mov_b32 v11, v13                                 // v_mov for reordering loaded data
v_add_f64 v[8:9], v[10:11], v[vgprValuC+16:vgprValuC+16+1] // desired value
_buffer_atomic_cmpswap_b64 v[8:11], v6, s[sgprSrdD:sgprSrdD+3] 0 offen offset:0 glc   // attempt write
v_add_f64 v[12:13], v[14:15], v[vgprValuC+18:vgprValuC+18+1] // desired value
_buffer_atomic_cmpswap_b64 v[12:15], v6, s[sgprSrdD:sgprSrdD+3] 0 offen offset:8 glc   // attempt write
s_mov_b64 exec, s[58:59]                           // sgprs -> exec (before atomic)
v_mov_b32 v26, v28                                 // v_mov for reordering loaded data
v_mov_b32 v27, v29                                 // v_mov for reordering loaded data
v_add_f64 v[24:25], v[26:27], v[vgprValuC+20:vgprValuC+20+1] // desired value
_buffer_atomic_cmpswap_b64 v[24:27], v7, s[sgprSrdD:sgprSrdD+3] 0 offen offset:0 glc   // attempt write
v_add_f64 v[28:29], v[30:31], v[vgprValuC+22:vgprValuC+22+1] // desired value
_buffer_atomic_cmpswap_b64 v[28:31], v7, s[sgprSrdD:sgprSrdD+3] 0 offen offset:8 glc   // attempt write
s_mov_b64 s[56:57], s[54:55]                       // copy out of range mask from the first one
s_mov_b64 s[60:61], s[58:59]                       // copy out of range mask from the first one
s_waitcnt vmcnt(0)                                 // wait for atomic writes

/* check success of writes, update masks */
s_mov_b64 exec, s[54:55]                           // sgprs -> exec
v_cmp_ne_u64 s[50:51], v[8:9], v[10:11]            // c read during atomic != c read during prior load
s_and_b64 s[54:55], s[50:51], s[54:55]             // inBounds & must try again
s_mov_b64 exec, s[56:57]                           // sgprs -> exec
v_cmp_ne_u64 s[50:51], v[12:13], v[14:15]          // c read during atomic != c read during prior load
s_and_b64 s[56:57], s[50:51], s[56:57]             // inBounds & must try again
s_mov_b64 exec, s[58:59]                           // sgprs -> exec
v_cmp_ne_u64 s[50:51], v[24:25], v[26:27]          // c read during atomic != c read during prior load
	;; [unrolled: 3-line block ×3, first 2 shown]
s_and_b64 s[60:61], s[50:51], s[60:61]             // inBounds & must try again

/* or masks to check for exit */
s_mov_b64 s[50:51], 0x0                            // empty mask
s_or_b64 s[50:51], s[54:55], s[50:51]              // or to add threads
s_or_b64 s[50:51], s[56:57], s[50:51]              // or to add threads
s_or_b64 s[50:51], s[58:59], s[50:51]              // or to add threads
s_or_b64 s[50:51], s[60:61], s[50:51]              // or to add threads
s_or_saveexec_b64 s[52:53], s[50:51]               // apply combined mask
s_cbranch_execz label_0146                         // if exec is zero skip loop

/* atomic CAS loop */
label_0145:

/* apply updated masks and issue writes again */
s_mov_b64 exec, s[54:55]                           // must try again
v_mov_b32 v10, v8                                  // dataV+2 = tmp (new original C)
v_mov_b32 v11, v9                                  // dataV+3 = tmp (new original C)
v_add_f64 v[8:9], v[10:11], v[vgprValuC+16:vgprValuC+16+1] // newC = rC + originalC
_buffer_atomic_cmpswap_b64 v[8:11], v6, s[sgprSrdD:sgprSrdD+3] 0 offen offset:0 glc   // attempt write
s_mov_b64 exec, s[56:57]                           // must try again
v_mov_b32 v14, v12                                 // dataV+2 = tmp (new original C)
v_mov_b32 v15, v13                                 // dataV+3 = tmp (new original C)
v_add_f64 v[12:13], v[14:15], v[vgprValuC+18:vgprValuC+18+1] // newC = rC + originalC
_buffer_atomic_cmpswap_b64 v[12:15], v6, s[sgprSrdD:sgprSrdD+3] 0 offen offset:8 glc   // attempt write
s_mov_b64 exec, s[58:59]                           // must try again
v_mov_b32 v26, v24                                 // dataV+2 = tmp (new original C)
v_mov_b32 v27, v25                                 // dataV+3 = tmp (new original C)
v_add_f64 v[24:25], v[26:27], v[vgprValuC+20:vgprValuC+20+1] // newC = rC + originalC
_buffer_atomic_cmpswap_b64 v[24:27], v7, s[sgprSrdD:sgprSrdD+3] 0 offen offset:0 glc   // attempt write
s_mov_b64 exec, s[60:61]                           // must try again
v_mov_b32 v30, v28                                 // dataV+2 = tmp (new original C)
v_mov_b32 v31, v29                                 // dataV+3 = tmp (new original C)
v_add_f64 v[28:29], v[30:31], v[vgprValuC+22:vgprValuC+22+1] // newC = rC + originalC
_buffer_atomic_cmpswap_b64 v[28:31], v7, s[sgprSrdD:sgprSrdD+3] 0 offen offset:8 glc   // attempt write
s_waitcnt vmcnt(0)                                 // wait for atomic writes

/* apply masks and check for success */
s_mov_b64 exec, s[54:55]                           // must try again
v_cmp_ne_u64 s[50:51], v[8:9], v[10:11]            // c read during atomic != c read during prior load
s_and_b64 s[54:55], s[50:51], s[54:55]             // inBounds & must try again
s_mov_b64 exec, s[56:57]                           // must try again
v_cmp_ne_u64 s[50:51], v[12:13], v[14:15]          // c read during atomic != c read during prior load
s_and_b64 s[56:57], s[50:51], s[56:57]             // inBounds & must try again
s_mov_b64 exec, s[58:59]                           // must try again
v_cmp_ne_u64 s[50:51], v[24:25], v[26:27]          // c read during atomic != c read during prior load
	;; [unrolled: 3-line block ×3, first 2 shown]
s_and_b64 s[60:61], s[50:51], s[60:61]             // inBounds & must try again

/* or masks to check for exit */
s_mov_b64 s[50:51], 0x0                            // empty mask
s_or_b64 s[50:51], s[54:55], s[50:51]              // or to add threads
s_or_b64 s[50:51], s[56:57], s[50:51]              // or to add threads
	;; [unrolled: 1-line block ×4, first 2 shown]
s_or_saveexec_b64 s[52:53], s[50:51]               // apply combined mask
s_cbranch_execnz label_0145                        // try again if not complete
label_0146:
s_mov_b64 exec, -1                                 // full mask -> exec
s_nop 0                                            // 1 wait state required when next inst writes vgprs held by previous dwordx4 store inst
/* optSingleColVgpr=0 optSharedColVgpr=0 optSGPRUsage=None optSrdIncForRow=0 */
s_sleep 1 // optimization: sync and wait
s_barrier

/******************************************/
/* Global Write Alpha Edge Batch #26 (d1,d0,vc1,vc0) = */
/*    (26,0,0,0:vw2:vaw:1); (26,1,0,0:vw2:vaw:1) */
/******************************************/

/* calc coords, apply mask, and issue loads (if necessary) */
/* (d1,vc1,d0,vc0)=(26,0,0,0) */
_v_add_co_u32 v1, vcc, v1, 4                       // coord1.1: coord1Vgpr += d1*sg1*VW + vc1

/* Fix for UseInitialStridesCD, emitAddressSetupCode */
s_mul_i32 s50, s[sgprStrideC1J], 4                 // scale stride
_v_add_u32 v2, v2, s50                             // ROWINC- Move cinRowPtr to next row
s_mul_i32 s50, s[sgprStrideD1J], 4                 // scale stride
_v_add_u32 v3, v3, s50                             // Move coutRowPtr to next row
v_cmp_lt_u32 s[50:51], v0, s[sgprSizeI]            // coord0 < size0
v_cmp_lt_u32 s[54:55], v1, s[sgprSizeJ]            // coord1 < size1
s_and_b64 s[54:55], s[50:51], s[54:55]             // in0 && in1
_v_add_lshl_u32 v6, v3, v0, 0x3                    // scaleToBpe: accumulate d0 lower and *= bpe into Cin addr
v_cndmask_b32 v6, -1, v6, s[54:55]                 // LDD clip if OOB. offset
_buffer_load_b128 v[12:15], v6, s[sgprSrdD:sgprSrdD+3], 0, offen offset:0 // load D (atomic) bpm=16 vaw=1
/* (d1,vc1,d0,vc0)=(26,0,1,0) */
s_mov_b32 s50, 128                                 // coordOffset0 d0=1 vc0=0
_v_add_co_u32 v4, vcc, v0, s50                     // coord0.2: coord0 += d0*sg0*VW + vc0
v_cmp_lt_u32 s[50:51], v4, s[sgprSizeI]            // coord0 < size0
v_cmp_lt_u32 s[58:59], v1, s[sgprSizeJ]            // coord1 < size1
s_and_b64 s[58:59], s[50:51], s[58:59]             // in0 && in1
_v_add_lshl_u32 v7, v3, v4, 0x3                    // scaleToBpe: accumulate d0 lower and *= bpe into Cin addr
v_cndmask_b32 v7, -1, v7, s[58:59]                 // LDD clip if OOB. offset
_buffer_load_b128 v[28:31], v7, s[sgprSrdD:sgprSrdD+3], 0, offen offset:0 // load D (atomic) bpm=16 vaw=1
v_accvgpr_read_b32 v[vgprValuC+16], acc196 // copy acc to vreg[208]
v_accvgpr_read_b32 v[vgprValuC+17], acc197 // copy acc to vreg[209]
v_accvgpr_read_b32 v[vgprValuC+18], acc204 // copy acc to vreg[210]
v_accvgpr_read_b32 v[vgprValuC+19], acc205 // copy acc to vreg[211]
v_accvgpr_read_b32 v[vgprValuC+20], acc212 // copy acc to vreg[212]
v_accvgpr_read_b32 v[vgprValuC+21], acc213 // copy acc to vreg[213]
v_accvgpr_read_b32 v[vgprValuC+22], acc220 // copy acc to vreg[214]
v_accvgpr_read_b32 v[vgprValuC+23], acc221 // copy acc to vreg[215]
s_nop 1                                            // 2 wait states required before reading vgpr

/* rC *= alpha batchElements=[(26, 0, 0, 0), (26, 1, 0, 0)] */
v_mul_f64 v[vgprValuC+16:vgprValuC+16+1], s[sgprAlpha:sgprAlpha+1], v[vgprValuC+16:vgprValuC+16+1] // *= alpha
v_mul_f64 v[vgprValuC+18:vgprValuC+18+1], s[sgprAlpha:sgprAlpha+1], v[vgprValuC+18:vgprValuC+18+1] // *= alpha
	;; [unrolled: 1-line block ×4, first 2 shown]
s_waitcnt vmcnt(0)                                 // wait C (atomic)

/* issue first atomic writes */
s_mov_b64 exec, s[54:55]                           // sgprs -> exec (before atomic)
v_mov_b32 v10, v12                                 // v_mov for reordering loaded data
v_mov_b32 v11, v13                                 // v_mov for reordering loaded data
v_add_f64 v[8:9], v[10:11], v[vgprValuC+16:vgprValuC+16+1] // desired value
_buffer_atomic_cmpswap_b64 v[8:11], v6, s[sgprSrdD:sgprSrdD+3] 0 offen offset:0 glc   // attempt write
v_add_f64 v[12:13], v[14:15], v[vgprValuC+18:vgprValuC+18+1] // desired value
_buffer_atomic_cmpswap_b64 v[12:15], v6, s[sgprSrdD:sgprSrdD+3] 0 offen offset:8 glc   // attempt write
s_mov_b64 exec, s[58:59]                           // sgprs -> exec (before atomic)
v_mov_b32 v26, v28                                 // v_mov for reordering loaded data
v_mov_b32 v27, v29                                 // v_mov for reordering loaded data
v_add_f64 v[24:25], v[26:27], v[vgprValuC+20:vgprValuC+20+1] // desired value
_buffer_atomic_cmpswap_b64 v[24:27], v7, s[sgprSrdD:sgprSrdD+3] 0 offen offset:0 glc   // attempt write
v_add_f64 v[28:29], v[30:31], v[vgprValuC+22:vgprValuC+22+1] // desired value
_buffer_atomic_cmpswap_b64 v[28:31], v7, s[sgprSrdD:sgprSrdD+3] 0 offen offset:8 glc   // attempt write
s_mov_b64 s[56:57], s[54:55]                       // copy out of range mask from the first one
s_mov_b64 s[60:61], s[58:59]                       // copy out of range mask from the first one
s_waitcnt vmcnt(0)                                 // wait for atomic writes

/* check success of writes, update masks */
s_mov_b64 exec, s[54:55]                           // sgprs -> exec
v_cmp_ne_u64 s[50:51], v[8:9], v[10:11]            // c read during atomic != c read during prior load
s_and_b64 s[54:55], s[50:51], s[54:55]             // inBounds & must try again
s_mov_b64 exec, s[56:57]                           // sgprs -> exec
v_cmp_ne_u64 s[50:51], v[12:13], v[14:15]          // c read during atomic != c read during prior load
s_and_b64 s[56:57], s[50:51], s[56:57]             // inBounds & must try again
s_mov_b64 exec, s[58:59]                           // sgprs -> exec
v_cmp_ne_u64 s[50:51], v[24:25], v[26:27]          // c read during atomic != c read during prior load
	;; [unrolled: 3-line block ×3, first 2 shown]
s_and_b64 s[60:61], s[50:51], s[60:61]             // inBounds & must try again

/* or masks to check for exit */
s_mov_b64 s[50:51], 0x0                            // empty mask
s_or_b64 s[50:51], s[54:55], s[50:51]              // or to add threads
s_or_b64 s[50:51], s[56:57], s[50:51]              // or to add threads
	;; [unrolled: 1-line block ×4, first 2 shown]
s_or_saveexec_b64 s[52:53], s[50:51]               // apply combined mask
s_cbranch_execz label_0148                         // if exec is zero skip loop

/* atomic CAS loop */
label_0147:

/* apply updated masks and issue writes again */
s_mov_b64 exec, s[54:55]                           // must try again
v_mov_b32 v10, v8                                  // dataV+2 = tmp (new original C)
v_mov_b32 v11, v9                                  // dataV+3 = tmp (new original C)
v_add_f64 v[8:9], v[10:11], v[vgprValuC+16:vgprValuC+16+1] // newC = rC + originalC
_buffer_atomic_cmpswap_b64 v[8:11], v6, s[sgprSrdD:sgprSrdD+3] 0 offen offset:0 glc   // attempt write
s_mov_b64 exec, s[56:57]                           // must try again
v_mov_b32 v14, v12                                 // dataV+2 = tmp (new original C)
v_mov_b32 v15, v13                                 // dataV+3 = tmp (new original C)
v_add_f64 v[12:13], v[14:15], v[vgprValuC+18:vgprValuC+18+1] // newC = rC + originalC
_buffer_atomic_cmpswap_b64 v[12:15], v6, s[sgprSrdD:sgprSrdD+3] 0 offen offset:8 glc   // attempt write
s_mov_b64 exec, s[58:59]                           // must try again
v_mov_b32 v26, v24                                 // dataV+2 = tmp (new original C)
v_mov_b32 v27, v25                                 // dataV+3 = tmp (new original C)
	;; [unrolled: 5-line block ×3, first 2 shown]
v_add_f64 v[28:29], v[30:31], v[vgprValuC+22:vgprValuC+22+1] // newC = rC + originalC
_buffer_atomic_cmpswap_b64 v[28:31], v7, s[sgprSrdD:sgprSrdD+3] 0 offen offset:8 glc   // attempt write
s_waitcnt vmcnt(0)                                 // wait for atomic writes

/* apply masks and check for success */
s_mov_b64 exec, s[54:55]                           // must try again
v_cmp_ne_u64 s[50:51], v[8:9], v[10:11]            // c read during atomic != c read during prior load
s_and_b64 s[54:55], s[50:51], s[54:55]             // inBounds & must try again
s_mov_b64 exec, s[56:57]                           // must try again
v_cmp_ne_u64 s[50:51], v[12:13], v[14:15]          // c read during atomic != c read during prior load
s_and_b64 s[56:57], s[50:51], s[56:57]             // inBounds & must try again
s_mov_b64 exec, s[58:59]                           // must try again
v_cmp_ne_u64 s[50:51], v[24:25], v[26:27]          // c read during atomic != c read during prior load
	;; [unrolled: 3-line block ×3, first 2 shown]
s_and_b64 s[60:61], s[50:51], s[60:61]             // inBounds & must try again

/* or masks to check for exit */
s_mov_b64 s[50:51], 0x0                            // empty mask
s_or_b64 s[50:51], s[54:55], s[50:51]              // or to add threads
s_or_b64 s[50:51], s[56:57], s[50:51]              // or to add threads
	;; [unrolled: 1-line block ×4, first 2 shown]
s_or_saveexec_b64 s[52:53], s[50:51]               // apply combined mask
s_cbranch_execnz label_0147                        // try again if not complete
label_0148:
s_mov_b64 exec, -1                                 // full mask -> exec
s_nop 0                                            // 1 wait state required when next inst writes vgprs held by previous dwordx4 store inst
/* optSingleColVgpr=0 optSharedColVgpr=0 optSGPRUsage=None optSrdIncForRow=0 */
s_sleep 1 // optimization: sync and wait
s_barrier

/******************************************/
/* Global Write Alpha Edge Batch #27 (d1,d0,vc1,vc0) = */
/*    (27,0,0,0:vw2:vaw:1); (27,1,0,0:vw2:vaw:1) */
/******************************************/

/* calc coords, apply mask, and issue loads (if necessary) */
/* (d1,vc1,d0,vc0)=(27,0,0,0) */
_v_add_co_u32 v1, vcc, v1, 4                       // coord1.1: coord1Vgpr += d1*sg1*VW + vc1

/* Fix for UseInitialStridesCD, emitAddressSetupCode */
s_mul_i32 s50, s[sgprStrideC1J], 4                 // scale stride
_v_add_u32 v2, v2, s50                             // ROWINC- Move cinRowPtr to next row
s_mul_i32 s50, s[sgprStrideD1J], 4                 // scale stride
_v_add_u32 v3, v3, s50                             // Move coutRowPtr to next row
v_cmp_lt_u32 s[50:51], v0, s[sgprSizeI]            // coord0 < size0
v_cmp_lt_u32 s[54:55], v1, s[sgprSizeJ]            // coord1 < size1
s_and_b64 s[54:55], s[50:51], s[54:55]             // in0 && in1
_v_add_lshl_u32 v6, v3, v0, 0x3                    // scaleToBpe: accumulate d0 lower and *= bpe into Cin addr
v_cndmask_b32 v6, -1, v6, s[54:55]                 // LDD clip if OOB. offset
_buffer_load_b128 v[12:15], v6, s[sgprSrdD:sgprSrdD+3], 0, offen offset:0 // load D (atomic) bpm=16 vaw=1
/* (d1,vc1,d0,vc0)=(27,0,1,0) */
s_mov_b32 s50, 128                                 // coordOffset0 d0=1 vc0=0
_v_add_co_u32 v4, vcc, v0, s50                     // coord0.2: coord0 += d0*sg0*VW + vc0
v_cmp_lt_u32 s[50:51], v4, s[sgprSizeI]            // coord0 < size0
v_cmp_lt_u32 s[58:59], v1, s[sgprSizeJ]            // coord1 < size1
s_and_b64 s[58:59], s[50:51], s[58:59]             // in0 && in1
_v_add_lshl_u32 v7, v3, v4, 0x3                    // scaleToBpe: accumulate d0 lower and *= bpe into Cin addr
v_cndmask_b32 v7, -1, v7, s[58:59]                 // LDD clip if OOB. offset
_buffer_load_b128 v[28:31], v7, s[sgprSrdD:sgprSrdD+3], 0, offen offset:0 // load D (atomic) bpm=16 vaw=1
v_accvgpr_read_b32 v[vgprValuC+16], acc198 // copy acc to vreg[216]
v_accvgpr_read_b32 v[vgprValuC+17], acc199 // copy acc to vreg[217]
v_accvgpr_read_b32 v[vgprValuC+18], acc206 // copy acc to vreg[218]
v_accvgpr_read_b32 v[vgprValuC+19], acc207 // copy acc to vreg[219]
v_accvgpr_read_b32 v[vgprValuC+20], acc214 // copy acc to vreg[220]
v_accvgpr_read_b32 v[vgprValuC+21], acc215 // copy acc to vreg[221]
v_accvgpr_read_b32 v[vgprValuC+22], acc222 // copy acc to vreg[222]
v_accvgpr_read_b32 v[vgprValuC+23], acc223 // copy acc to vreg[223]
s_nop 1                                            // 2 wait states required before reading vgpr

/* rC *= alpha batchElements=[(27, 0, 0, 0), (27, 1, 0, 0)] */
v_mul_f64 v[vgprValuC+16:vgprValuC+16+1], s[sgprAlpha:sgprAlpha+1], v[vgprValuC+16:vgprValuC+16+1] // *= alpha
v_mul_f64 v[vgprValuC+18:vgprValuC+18+1], s[sgprAlpha:sgprAlpha+1], v[vgprValuC+18:vgprValuC+18+1] // *= alpha
	;; [unrolled: 1-line block ×4, first 2 shown]
s_waitcnt vmcnt(0)                                 // wait C (atomic)

/* issue first atomic writes */
s_mov_b64 exec, s[54:55]                           // sgprs -> exec (before atomic)
v_mov_b32 v10, v12                                 // v_mov for reordering loaded data
v_mov_b32 v11, v13                                 // v_mov for reordering loaded data
v_add_f64 v[8:9], v[10:11], v[vgprValuC+16:vgprValuC+16+1] // desired value
_buffer_atomic_cmpswap_b64 v[8:11], v6, s[sgprSrdD:sgprSrdD+3] 0 offen offset:0 glc   // attempt write
v_add_f64 v[12:13], v[14:15], v[vgprValuC+18:vgprValuC+18+1] // desired value
_buffer_atomic_cmpswap_b64 v[12:15], v6, s[sgprSrdD:sgprSrdD+3] 0 offen offset:8 glc   // attempt write
s_mov_b64 exec, s[58:59]                           // sgprs -> exec (before atomic)
v_mov_b32 v26, v28                                 // v_mov for reordering loaded data
v_mov_b32 v27, v29                                 // v_mov for reordering loaded data
v_add_f64 v[24:25], v[26:27], v[vgprValuC+20:vgprValuC+20+1] // desired value
_buffer_atomic_cmpswap_b64 v[24:27], v7, s[sgprSrdD:sgprSrdD+3] 0 offen offset:0 glc   // attempt write
v_add_f64 v[28:29], v[30:31], v[vgprValuC+22:vgprValuC+22+1] // desired value
_buffer_atomic_cmpswap_b64 v[28:31], v7, s[sgprSrdD:sgprSrdD+3] 0 offen offset:8 glc   // attempt write
s_mov_b64 s[56:57], s[54:55]                       // copy out of range mask from the first one
s_mov_b64 s[60:61], s[58:59]                       // copy out of range mask from the first one
s_waitcnt vmcnt(0)                                 // wait for atomic writes

/* check success of writes, update masks */
s_mov_b64 exec, s[54:55]                           // sgprs -> exec
v_cmp_ne_u64 s[50:51], v[8:9], v[10:11]            // c read during atomic != c read during prior load
s_and_b64 s[54:55], s[50:51], s[54:55]             // inBounds & must try again
s_mov_b64 exec, s[56:57]                           // sgprs -> exec
v_cmp_ne_u64 s[50:51], v[12:13], v[14:15]          // c read during atomic != c read during prior load
s_and_b64 s[56:57], s[50:51], s[56:57]             // inBounds & must try again
s_mov_b64 exec, s[58:59]                           // sgprs -> exec
v_cmp_ne_u64 s[50:51], v[24:25], v[26:27]          // c read during atomic != c read during prior load
	;; [unrolled: 3-line block ×3, first 2 shown]
s_and_b64 s[60:61], s[50:51], s[60:61]             // inBounds & must try again

/* or masks to check for exit */
s_mov_b64 s[50:51], 0x0                            // empty mask
s_or_b64 s[50:51], s[54:55], s[50:51]              // or to add threads
s_or_b64 s[50:51], s[56:57], s[50:51]              // or to add threads
	;; [unrolled: 1-line block ×4, first 2 shown]
s_or_saveexec_b64 s[52:53], s[50:51]               // apply combined mask
s_cbranch_execz label_0150                         // if exec is zero skip loop

/* atomic CAS loop */
label_0149:

/* apply updated masks and issue writes again */
s_mov_b64 exec, s[54:55]                           // must try again
v_mov_b32 v10, v8                                  // dataV+2 = tmp (new original C)
v_mov_b32 v11, v9                                  // dataV+3 = tmp (new original C)
v_add_f64 v[8:9], v[10:11], v[vgprValuC+16:vgprValuC+16+1] // newC = rC + originalC
_buffer_atomic_cmpswap_b64 v[8:11], v6, s[sgprSrdD:sgprSrdD+3] 0 offen offset:0 glc   // attempt write
s_mov_b64 exec, s[56:57]                           // must try again
v_mov_b32 v14, v12                                 // dataV+2 = tmp (new original C)
v_mov_b32 v15, v13                                 // dataV+3 = tmp (new original C)
v_add_f64 v[12:13], v[14:15], v[vgprValuC+18:vgprValuC+18+1] // newC = rC + originalC
_buffer_atomic_cmpswap_b64 v[12:15], v6, s[sgprSrdD:sgprSrdD+3] 0 offen offset:8 glc   // attempt write
s_mov_b64 exec, s[58:59]                           // must try again
v_mov_b32 v26, v24                                 // dataV+2 = tmp (new original C)
v_mov_b32 v27, v25                                 // dataV+3 = tmp (new original C)
	;; [unrolled: 5-line block ×3, first 2 shown]
v_add_f64 v[28:29], v[30:31], v[vgprValuC+22:vgprValuC+22+1] // newC = rC + originalC
_buffer_atomic_cmpswap_b64 v[28:31], v7, s[sgprSrdD:sgprSrdD+3] 0 offen offset:8 glc   // attempt write
s_waitcnt vmcnt(0)                                 // wait for atomic writes

/* apply masks and check for success */
s_mov_b64 exec, s[54:55]                           // must try again
v_cmp_ne_u64 s[50:51], v[8:9], v[10:11]            // c read during atomic != c read during prior load
s_and_b64 s[54:55], s[50:51], s[54:55]             // inBounds & must try again
s_mov_b64 exec, s[56:57]                           // must try again
v_cmp_ne_u64 s[50:51], v[12:13], v[14:15]          // c read during atomic != c read during prior load
s_and_b64 s[56:57], s[50:51], s[56:57]             // inBounds & must try again
s_mov_b64 exec, s[58:59]                           // must try again
v_cmp_ne_u64 s[50:51], v[24:25], v[26:27]          // c read during atomic != c read during prior load
	;; [unrolled: 3-line block ×3, first 2 shown]
s_and_b64 s[60:61], s[50:51], s[60:61]             // inBounds & must try again

/* or masks to check for exit */
s_mov_b64 s[50:51], 0x0                            // empty mask
s_or_b64 s[50:51], s[54:55], s[50:51]              // or to add threads
s_or_b64 s[50:51], s[56:57], s[50:51]              // or to add threads
	;; [unrolled: 1-line block ×4, first 2 shown]
s_or_saveexec_b64 s[52:53], s[50:51]               // apply combined mask
s_cbranch_execnz label_0149                        // try again if not complete
label_0150:
s_mov_b64 exec, -1                                 // full mask -> exec
s_nop 0                                            // 1 wait state required when next inst writes vgprs held by previous dwordx4 store inst
/* optSingleColVgpr=0 optSharedColVgpr=0 optSGPRUsage=None optSrdIncForRow=0 */
s_sleep 1 // optimization: sync and wait
s_barrier

/******************************************/
/* Global Write Alpha Edge Batch #28 (d1,d0,vc1,vc0) = */
/*    (28,0,0,0:vw2:vaw:1); (28,1,0,0:vw2:vaw:1) */
/******************************************/

/* calc coords, apply mask, and issue loads (if necessary) */
/* (d1,vc1,d0,vc0)=(28,0,0,0) */
_v_add_co_u32 v1, vcc, v1, 4                       // coord1.1: coord1Vgpr += d1*sg1*VW + vc1

/* Fix for UseInitialStridesCD, emitAddressSetupCode */
s_mul_i32 s50, s[sgprStrideC1J], 4                 // scale stride
_v_add_u32 v2, v2, s50                             // ROWINC- Move cinRowPtr to next row
s_mul_i32 s50, s[sgprStrideD1J], 4                 // scale stride
_v_add_u32 v3, v3, s50                             // Move coutRowPtr to next row
v_cmp_lt_u32 s[50:51], v0, s[sgprSizeI]            // coord0 < size0
v_cmp_lt_u32 s[54:55], v1, s[sgprSizeJ]            // coord1 < size1
s_and_b64 s[54:55], s[50:51], s[54:55]             // in0 && in1
_v_add_lshl_u32 v6, v3, v0, 0x3                    // scaleToBpe: accumulate d0 lower and *= bpe into Cin addr
v_cndmask_b32 v6, -1, v6, s[54:55]                 // LDD clip if OOB. offset
_buffer_load_b128 v[12:15], v6, s[sgprSrdD:sgprSrdD+3], 0, offen offset:0 // load D (atomic) bpm=16 vaw=1
/* (d1,vc1,d0,vc0)=(28,0,1,0) */
s_mov_b32 s50, 128                                 // coordOffset0 d0=1 vc0=0
_v_add_co_u32 v4, vcc, v0, s50                     // coord0.2: coord0 += d0*sg0*VW + vc0
v_cmp_lt_u32 s[50:51], v4, s[sgprSizeI]            // coord0 < size0
v_cmp_lt_u32 s[58:59], v1, s[sgprSizeJ]            // coord1 < size1
s_and_b64 s[58:59], s[50:51], s[58:59]             // in0 && in1
_v_add_lshl_u32 v7, v3, v4, 0x3                    // scaleToBpe: accumulate d0 lower and *= bpe into Cin addr
v_cndmask_b32 v7, -1, v7, s[58:59]                 // LDD clip if OOB. offset
_buffer_load_b128 v[28:31], v7, s[sgprSrdD:sgprSrdD+3], 0, offen offset:0 // load D (atomic) bpm=16 vaw=1
v_accvgpr_read_b32 v[vgprValuC+16], acc224 // copy acc to vreg[224]
v_accvgpr_read_b32 v[vgprValuC+17], acc225 // copy acc to vreg[225]
v_accvgpr_read_b32 v[vgprValuC+18], acc232 // copy acc to vreg[226]
v_accvgpr_read_b32 v[vgprValuC+19], acc233 // copy acc to vreg[227]
v_accvgpr_read_b32 v[vgprValuC+20], acc240 // copy acc to vreg[228]
v_accvgpr_read_b32 v[vgprValuC+21], acc241 // copy acc to vreg[229]
v_accvgpr_read_b32 v[vgprValuC+22], acc248 // copy acc to vreg[230]
v_accvgpr_read_b32 v[vgprValuC+23], acc249 // copy acc to vreg[231]
s_nop 1                                            // 2 wait states required before reading vgpr

/* rC *= alpha batchElements=[(28, 0, 0, 0), (28, 1, 0, 0)] */
v_mul_f64 v[vgprValuC+16:vgprValuC+16+1], s[sgprAlpha:sgprAlpha+1], v[vgprValuC+16:vgprValuC+16+1] // *= alpha
v_mul_f64 v[vgprValuC+18:vgprValuC+18+1], s[sgprAlpha:sgprAlpha+1], v[vgprValuC+18:vgprValuC+18+1] // *= alpha
	;; [unrolled: 1-line block ×4, first 2 shown]
s_waitcnt vmcnt(0)                                 // wait C (atomic)

/* issue first atomic writes */
s_mov_b64 exec, s[54:55]                           // sgprs -> exec (before atomic)
v_mov_b32 v10, v12                                 // v_mov for reordering loaded data
v_mov_b32 v11, v13                                 // v_mov for reordering loaded data
v_add_f64 v[8:9], v[10:11], v[vgprValuC+16:vgprValuC+16+1] // desired value
_buffer_atomic_cmpswap_b64 v[8:11], v6, s[sgprSrdD:sgprSrdD+3] 0 offen offset:0 glc   // attempt write
v_add_f64 v[12:13], v[14:15], v[vgprValuC+18:vgprValuC+18+1] // desired value
_buffer_atomic_cmpswap_b64 v[12:15], v6, s[sgprSrdD:sgprSrdD+3] 0 offen offset:8 glc   // attempt write
s_mov_b64 exec, s[58:59]                           // sgprs -> exec (before atomic)
v_mov_b32 v26, v28                                 // v_mov for reordering loaded data
v_mov_b32 v27, v29                                 // v_mov for reordering loaded data
v_add_f64 v[24:25], v[26:27], v[vgprValuC+20:vgprValuC+20+1] // desired value
_buffer_atomic_cmpswap_b64 v[24:27], v7, s[sgprSrdD:sgprSrdD+3] 0 offen offset:0 glc   // attempt write
v_add_f64 v[28:29], v[30:31], v[vgprValuC+22:vgprValuC+22+1] // desired value
_buffer_atomic_cmpswap_b64 v[28:31], v7, s[sgprSrdD:sgprSrdD+3] 0 offen offset:8 glc   // attempt write
s_mov_b64 s[56:57], s[54:55]                       // copy out of range mask from the first one
s_mov_b64 s[60:61], s[58:59]                       // copy out of range mask from the first one
s_waitcnt vmcnt(0)                                 // wait for atomic writes

/* check success of writes, update masks */
s_mov_b64 exec, s[54:55]                           // sgprs -> exec
v_cmp_ne_u64 s[50:51], v[8:9], v[10:11]            // c read during atomic != c read during prior load
s_and_b64 s[54:55], s[50:51], s[54:55]             // inBounds & must try again
s_mov_b64 exec, s[56:57]                           // sgprs -> exec
v_cmp_ne_u64 s[50:51], v[12:13], v[14:15]          // c read during atomic != c read during prior load
s_and_b64 s[56:57], s[50:51], s[56:57]             // inBounds & must try again
s_mov_b64 exec, s[58:59]                           // sgprs -> exec
v_cmp_ne_u64 s[50:51], v[24:25], v[26:27]          // c read during atomic != c read during prior load
	;; [unrolled: 3-line block ×3, first 2 shown]
s_and_b64 s[60:61], s[50:51], s[60:61]             // inBounds & must try again

/* or masks to check for exit */
s_mov_b64 s[50:51], 0x0                            // empty mask
s_or_b64 s[50:51], s[54:55], s[50:51]              // or to add threads
s_or_b64 s[50:51], s[56:57], s[50:51]              // or to add threads
	;; [unrolled: 1-line block ×4, first 2 shown]
s_or_saveexec_b64 s[52:53], s[50:51]               // apply combined mask
s_cbranch_execz label_0152                         // if exec is zero skip loop

/* atomic CAS loop */
label_0151:

/* apply updated masks and issue writes again */
s_mov_b64 exec, s[54:55]                           // must try again
v_mov_b32 v10, v8                                  // dataV+2 = tmp (new original C)
v_mov_b32 v11, v9                                  // dataV+3 = tmp (new original C)
v_add_f64 v[8:9], v[10:11], v[vgprValuC+16:vgprValuC+16+1] // newC = rC + originalC
_buffer_atomic_cmpswap_b64 v[8:11], v6, s[sgprSrdD:sgprSrdD+3] 0 offen offset:0 glc   // attempt write
s_mov_b64 exec, s[56:57]                           // must try again
v_mov_b32 v14, v12                                 // dataV+2 = tmp (new original C)
v_mov_b32 v15, v13                                 // dataV+3 = tmp (new original C)
v_add_f64 v[12:13], v[14:15], v[vgprValuC+18:vgprValuC+18+1] // newC = rC + originalC
_buffer_atomic_cmpswap_b64 v[12:15], v6, s[sgprSrdD:sgprSrdD+3] 0 offen offset:8 glc   // attempt write
s_mov_b64 exec, s[58:59]                           // must try again
v_mov_b32 v26, v24                                 // dataV+2 = tmp (new original C)
v_mov_b32 v27, v25                                 // dataV+3 = tmp (new original C)
	;; [unrolled: 5-line block ×3, first 2 shown]
v_add_f64 v[28:29], v[30:31], v[vgprValuC+22:vgprValuC+22+1] // newC = rC + originalC
_buffer_atomic_cmpswap_b64 v[28:31], v7, s[sgprSrdD:sgprSrdD+3] 0 offen offset:8 glc   // attempt write
s_waitcnt vmcnt(0)                                 // wait for atomic writes

/* apply masks and check for success */
s_mov_b64 exec, s[54:55]                           // must try again
v_cmp_ne_u64 s[50:51], v[8:9], v[10:11]            // c read during atomic != c read during prior load
s_and_b64 s[54:55], s[50:51], s[54:55]             // inBounds & must try again
s_mov_b64 exec, s[56:57]                           // must try again
v_cmp_ne_u64 s[50:51], v[12:13], v[14:15]          // c read during atomic != c read during prior load
s_and_b64 s[56:57], s[50:51], s[56:57]             // inBounds & must try again
s_mov_b64 exec, s[58:59]                           // must try again
v_cmp_ne_u64 s[50:51], v[24:25], v[26:27]          // c read during atomic != c read during prior load
	;; [unrolled: 3-line block ×3, first 2 shown]
s_and_b64 s[60:61], s[50:51], s[60:61]             // inBounds & must try again

/* or masks to check for exit */
s_mov_b64 s[50:51], 0x0                            // empty mask
s_or_b64 s[50:51], s[54:55], s[50:51]              // or to add threads
s_or_b64 s[50:51], s[56:57], s[50:51]              // or to add threads
	;; [unrolled: 1-line block ×4, first 2 shown]
s_or_saveexec_b64 s[52:53], s[50:51]               // apply combined mask
s_cbranch_execnz label_0151                        // try again if not complete
label_0152:
s_mov_b64 exec, -1                                 // full mask -> exec
s_nop 0                                            // 1 wait state required when next inst writes vgprs held by previous dwordx4 store inst
/* optSingleColVgpr=0 optSharedColVgpr=0 optSGPRUsage=None optSrdIncForRow=0 */
s_sleep 1 // optimization: sync and wait
s_barrier

/******************************************/
/* Global Write Alpha Edge Batch #29 (d1,d0,vc1,vc0) = */
/*    (29,0,0,0:vw2:vaw:1); (29,1,0,0:vw2:vaw:1) */
/******************************************/

/* calc coords, apply mask, and issue loads (if necessary) */
/* (d1,vc1,d0,vc0)=(29,0,0,0) */
_v_add_co_u32 v1, vcc, v1, 4                       // coord1.1: coord1Vgpr += d1*sg1*VW + vc1

/* Fix for UseInitialStridesCD, emitAddressSetupCode */
s_mul_i32 s50, s[sgprStrideC1J], 4                 // scale stride
_v_add_u32 v2, v2, s50                             // ROWINC- Move cinRowPtr to next row
s_mul_i32 s50, s[sgprStrideD1J], 4                 // scale stride
_v_add_u32 v3, v3, s50                             // Move coutRowPtr to next row
v_cmp_lt_u32 s[50:51], v0, s[sgprSizeI]            // coord0 < size0
v_cmp_lt_u32 s[54:55], v1, s[sgprSizeJ]            // coord1 < size1
s_and_b64 s[54:55], s[50:51], s[54:55]             // in0 && in1
_v_add_lshl_u32 v6, v3, v0, 0x3                    // scaleToBpe: accumulate d0 lower and *= bpe into Cin addr
v_cndmask_b32 v6, -1, v6, s[54:55]                 // LDD clip if OOB. offset
_buffer_load_b128 v[12:15], v6, s[sgprSrdD:sgprSrdD+3], 0, offen offset:0 // load D (atomic) bpm=16 vaw=1
/* (d1,vc1,d0,vc0)=(29,0,1,0) */
s_mov_b32 s50, 128                                 // coordOffset0 d0=1 vc0=0
_v_add_co_u32 v4, vcc, v0, s50                     // coord0.2: coord0 += d0*sg0*VW + vc0
v_cmp_lt_u32 s[50:51], v4, s[sgprSizeI]            // coord0 < size0
v_cmp_lt_u32 s[58:59], v1, s[sgprSizeJ]            // coord1 < size1
s_and_b64 s[58:59], s[50:51], s[58:59]             // in0 && in1
_v_add_lshl_u32 v7, v3, v4, 0x3                    // scaleToBpe: accumulate d0 lower and *= bpe into Cin addr
v_cndmask_b32 v7, -1, v7, s[58:59]                 // LDD clip if OOB. offset
_buffer_load_b128 v[28:31], v7, s[sgprSrdD:sgprSrdD+3], 0, offen offset:0 // load D (atomic) bpm=16 vaw=1
v_accvgpr_read_b32 v[vgprValuC+16], acc226 // copy acc to vreg[232]
v_accvgpr_read_b32 v[vgprValuC+17], acc227 // copy acc to vreg[233]
v_accvgpr_read_b32 v[vgprValuC+18], acc234 // copy acc to vreg[234]
v_accvgpr_read_b32 v[vgprValuC+19], acc235 // copy acc to vreg[235]
v_accvgpr_read_b32 v[vgprValuC+20], acc242 // copy acc to vreg[236]
v_accvgpr_read_b32 v[vgprValuC+21], acc243 // copy acc to vreg[237]
v_accvgpr_read_b32 v[vgprValuC+22], acc250 // copy acc to vreg[238]
v_accvgpr_read_b32 v[vgprValuC+23], acc251 // copy acc to vreg[239]
s_nop 1                                            // 2 wait states required before reading vgpr

/* rC *= alpha batchElements=[(29, 0, 0, 0), (29, 1, 0, 0)] */
v_mul_f64 v[vgprValuC+16:vgprValuC+16+1], s[sgprAlpha:sgprAlpha+1], v[vgprValuC+16:vgprValuC+16+1] // *= alpha
v_mul_f64 v[vgprValuC+18:vgprValuC+18+1], s[sgprAlpha:sgprAlpha+1], v[vgprValuC+18:vgprValuC+18+1] // *= alpha
	;; [unrolled: 1-line block ×4, first 2 shown]
s_waitcnt vmcnt(0)                                 // wait C (atomic)

/* issue first atomic writes */
s_mov_b64 exec, s[54:55]                           // sgprs -> exec (before atomic)
v_mov_b32 v10, v12                                 // v_mov for reordering loaded data
v_mov_b32 v11, v13                                 // v_mov for reordering loaded data
v_add_f64 v[8:9], v[10:11], v[vgprValuC+16:vgprValuC+16+1] // desired value
_buffer_atomic_cmpswap_b64 v[8:11], v6, s[sgprSrdD:sgprSrdD+3] 0 offen offset:0 glc   // attempt write
v_add_f64 v[12:13], v[14:15], v[vgprValuC+18:vgprValuC+18+1] // desired value
_buffer_atomic_cmpswap_b64 v[12:15], v6, s[sgprSrdD:sgprSrdD+3] 0 offen offset:8 glc   // attempt write
s_mov_b64 exec, s[58:59]                           // sgprs -> exec (before atomic)
v_mov_b32 v26, v28                                 // v_mov for reordering loaded data
v_mov_b32 v27, v29                                 // v_mov for reordering loaded data
v_add_f64 v[24:25], v[26:27], v[vgprValuC+20:vgprValuC+20+1] // desired value
_buffer_atomic_cmpswap_b64 v[24:27], v7, s[sgprSrdD:sgprSrdD+3] 0 offen offset:0 glc   // attempt write
v_add_f64 v[28:29], v[30:31], v[vgprValuC+22:vgprValuC+22+1] // desired value
_buffer_atomic_cmpswap_b64 v[28:31], v7, s[sgprSrdD:sgprSrdD+3] 0 offen offset:8 glc   // attempt write
s_mov_b64 s[56:57], s[54:55]                       // copy out of range mask from the first one
s_mov_b64 s[60:61], s[58:59]                       // copy out of range mask from the first one
s_waitcnt vmcnt(0)                                 // wait for atomic writes

/* check success of writes, update masks */
s_mov_b64 exec, s[54:55]                           // sgprs -> exec
v_cmp_ne_u64 s[50:51], v[8:9], v[10:11]            // c read during atomic != c read during prior load
s_and_b64 s[54:55], s[50:51], s[54:55]             // inBounds & must try again
s_mov_b64 exec, s[56:57]                           // sgprs -> exec
v_cmp_ne_u64 s[50:51], v[12:13], v[14:15]          // c read during atomic != c read during prior load
s_and_b64 s[56:57], s[50:51], s[56:57]             // inBounds & must try again
s_mov_b64 exec, s[58:59]                           // sgprs -> exec
v_cmp_ne_u64 s[50:51], v[24:25], v[26:27]          // c read during atomic != c read during prior load
	;; [unrolled: 3-line block ×3, first 2 shown]
s_and_b64 s[60:61], s[50:51], s[60:61]             // inBounds & must try again

/* or masks to check for exit */
s_mov_b64 s[50:51], 0x0                            // empty mask
s_or_b64 s[50:51], s[54:55], s[50:51]              // or to add threads
s_or_b64 s[50:51], s[56:57], s[50:51]              // or to add threads
	;; [unrolled: 1-line block ×4, first 2 shown]
s_or_saveexec_b64 s[52:53], s[50:51]               // apply combined mask
s_cbranch_execz label_0154                         // if exec is zero skip loop

/* atomic CAS loop */
label_0153:

/* apply updated masks and issue writes again */
s_mov_b64 exec, s[54:55]                           // must try again
v_mov_b32 v10, v8                                  // dataV+2 = tmp (new original C)
v_mov_b32 v11, v9                                  // dataV+3 = tmp (new original C)
v_add_f64 v[8:9], v[10:11], v[vgprValuC+16:vgprValuC+16+1] // newC = rC + originalC
_buffer_atomic_cmpswap_b64 v[8:11], v6, s[sgprSrdD:sgprSrdD+3] 0 offen offset:0 glc   // attempt write
s_mov_b64 exec, s[56:57]                           // must try again
v_mov_b32 v14, v12                                 // dataV+2 = tmp (new original C)
v_mov_b32 v15, v13                                 // dataV+3 = tmp (new original C)
v_add_f64 v[12:13], v[14:15], v[vgprValuC+18:vgprValuC+18+1] // newC = rC + originalC
_buffer_atomic_cmpswap_b64 v[12:15], v6, s[sgprSrdD:sgprSrdD+3] 0 offen offset:8 glc   // attempt write
s_mov_b64 exec, s[58:59]                           // must try again
v_mov_b32 v26, v24                                 // dataV+2 = tmp (new original C)
v_mov_b32 v27, v25                                 // dataV+3 = tmp (new original C)
	;; [unrolled: 5-line block ×3, first 2 shown]
v_add_f64 v[28:29], v[30:31], v[vgprValuC+22:vgprValuC+22+1] // newC = rC + originalC
_buffer_atomic_cmpswap_b64 v[28:31], v7, s[sgprSrdD:sgprSrdD+3] 0 offen offset:8 glc   // attempt write
s_waitcnt vmcnt(0)                                 // wait for atomic writes

/* apply masks and check for success */
s_mov_b64 exec, s[54:55]                           // must try again
v_cmp_ne_u64 s[50:51], v[8:9], v[10:11]            // c read during atomic != c read during prior load
s_and_b64 s[54:55], s[50:51], s[54:55]             // inBounds & must try again
s_mov_b64 exec, s[56:57]                           // must try again
v_cmp_ne_u64 s[50:51], v[12:13], v[14:15]          // c read during atomic != c read during prior load
s_and_b64 s[56:57], s[50:51], s[56:57]             // inBounds & must try again
s_mov_b64 exec, s[58:59]                           // must try again
v_cmp_ne_u64 s[50:51], v[24:25], v[26:27]          // c read during atomic != c read during prior load
	;; [unrolled: 3-line block ×3, first 2 shown]
s_and_b64 s[60:61], s[50:51], s[60:61]             // inBounds & must try again

/* or masks to check for exit */
s_mov_b64 s[50:51], 0x0                            // empty mask
s_or_b64 s[50:51], s[54:55], s[50:51]              // or to add threads
s_or_b64 s[50:51], s[56:57], s[50:51]              // or to add threads
s_or_b64 s[50:51], s[58:59], s[50:51]              // or to add threads
s_or_b64 s[50:51], s[60:61], s[50:51]              // or to add threads
s_or_saveexec_b64 s[52:53], s[50:51]               // apply combined mask
s_cbranch_execnz label_0153                        // try again if not complete
label_0154:
s_mov_b64 exec, -1                                 // full mask -> exec
s_nop 0                                            // 1 wait state required when next inst writes vgprs held by previous dwordx4 store inst
/* optSingleColVgpr=0 optSharedColVgpr=0 optSGPRUsage=None optSrdIncForRow=0 */
s_sleep 1 // optimization: sync and wait
s_barrier

/******************************************/
/* Global Write Alpha Edge Batch #30 (d1,d0,vc1,vc0) = */
/*    (30,0,0,0:vw2:vaw:1); (30,1,0,0:vw2:vaw:1) */
/******************************************/

/* calc coords, apply mask, and issue loads (if necessary) */
/* (d1,vc1,d0,vc0)=(30,0,0,0) */
_v_add_co_u32 v1, vcc, v1, 4                       // coord1.1: coord1Vgpr += d1*sg1*VW + vc1

/* Fix for UseInitialStridesCD, emitAddressSetupCode */
s_mul_i32 s50, s[sgprStrideC1J], 4                 // scale stride
_v_add_u32 v2, v2, s50                             // ROWINC- Move cinRowPtr to next row
s_mul_i32 s50, s[sgprStrideD1J], 4                 // scale stride
_v_add_u32 v3, v3, s50                             // Move coutRowPtr to next row
v_cmp_lt_u32 s[50:51], v0, s[sgprSizeI]            // coord0 < size0
v_cmp_lt_u32 s[54:55], v1, s[sgprSizeJ]            // coord1 < size1
s_and_b64 s[54:55], s[50:51], s[54:55]             // in0 && in1
_v_add_lshl_u32 v6, v3, v0, 0x3                    // scaleToBpe: accumulate d0 lower and *= bpe into Cin addr
v_cndmask_b32 v6, -1, v6, s[54:55]                 // LDD clip if OOB. offset
_buffer_load_b128 v[12:15], v6, s[sgprSrdD:sgprSrdD+3], 0, offen offset:0 // load D (atomic) bpm=16 vaw=1
/* (d1,vc1,d0,vc0)=(30,0,1,0) */
s_mov_b32 s50, 128                                 // coordOffset0 d0=1 vc0=0
_v_add_co_u32 v4, vcc, v0, s50                     // coord0.2: coord0 += d0*sg0*VW + vc0
v_cmp_lt_u32 s[50:51], v4, s[sgprSizeI]            // coord0 < size0
v_cmp_lt_u32 s[58:59], v1, s[sgprSizeJ]            // coord1 < size1
s_and_b64 s[58:59], s[50:51], s[58:59]             // in0 && in1
_v_add_lshl_u32 v7, v3, v4, 0x3                    // scaleToBpe: accumulate d0 lower and *= bpe into Cin addr
v_cndmask_b32 v7, -1, v7, s[58:59]                 // LDD clip if OOB. offset
_buffer_load_b128 v[28:31], v7, s[sgprSrdD:sgprSrdD+3], 0, offen offset:0 // load D (atomic) bpm=16 vaw=1
v_accvgpr_read_b32 v[vgprValuC+16], acc228 // copy acc to vreg[240]
v_accvgpr_read_b32 v[vgprValuC+17], acc229 // copy acc to vreg[241]
v_accvgpr_read_b32 v[vgprValuC+18], acc236 // copy acc to vreg[242]
v_accvgpr_read_b32 v[vgprValuC+19], acc237 // copy acc to vreg[243]
v_accvgpr_read_b32 v[vgprValuC+20], acc244 // copy acc to vreg[244]
v_accvgpr_read_b32 v[vgprValuC+21], acc245 // copy acc to vreg[245]
v_accvgpr_read_b32 v[vgprValuC+22], acc252 // copy acc to vreg[246]
v_accvgpr_read_b32 v[vgprValuC+23], acc253 // copy acc to vreg[247]
s_nop 1                                            // 2 wait states required before reading vgpr

/* rC *= alpha batchElements=[(30, 0, 0, 0), (30, 1, 0, 0)] */
v_mul_f64 v[vgprValuC+16:vgprValuC+16+1], s[sgprAlpha:sgprAlpha+1], v[vgprValuC+16:vgprValuC+16+1] // *= alpha
v_mul_f64 v[vgprValuC+18:vgprValuC+18+1], s[sgprAlpha:sgprAlpha+1], v[vgprValuC+18:vgprValuC+18+1] // *= alpha
	;; [unrolled: 1-line block ×4, first 2 shown]
s_waitcnt vmcnt(0)                                 // wait C (atomic)

/* issue first atomic writes */
s_mov_b64 exec, s[54:55]                           // sgprs -> exec (before atomic)
v_mov_b32 v10, v12                                 // v_mov for reordering loaded data
v_mov_b32 v11, v13                                 // v_mov for reordering loaded data
v_add_f64 v[8:9], v[10:11], v[vgprValuC+16:vgprValuC+16+1] // desired value
_buffer_atomic_cmpswap_b64 v[8:11], v6, s[sgprSrdD:sgprSrdD+3] 0 offen offset:0 glc   // attempt write
v_add_f64 v[12:13], v[14:15], v[vgprValuC+18:vgprValuC+18+1] // desired value
_buffer_atomic_cmpswap_b64 v[12:15], v6, s[sgprSrdD:sgprSrdD+3] 0 offen offset:8 glc   // attempt write
s_mov_b64 exec, s[58:59]                           // sgprs -> exec (before atomic)
v_mov_b32 v26, v28                                 // v_mov for reordering loaded data
v_mov_b32 v27, v29                                 // v_mov for reordering loaded data
v_add_f64 v[24:25], v[26:27], v[vgprValuC+20:vgprValuC+20+1] // desired value
_buffer_atomic_cmpswap_b64 v[24:27], v7, s[sgprSrdD:sgprSrdD+3] 0 offen offset:0 glc   // attempt write
v_add_f64 v[28:29], v[30:31], v[vgprValuC+22:vgprValuC+22+1] // desired value
_buffer_atomic_cmpswap_b64 v[28:31], v7, s[sgprSrdD:sgprSrdD+3] 0 offen offset:8 glc   // attempt write
s_mov_b64 s[56:57], s[54:55]                       // copy out of range mask from the first one
s_mov_b64 s[60:61], s[58:59]                       // copy out of range mask from the first one
s_waitcnt vmcnt(0)                                 // wait for atomic writes

/* check success of writes, update masks */
s_mov_b64 exec, s[54:55]                           // sgprs -> exec
v_cmp_ne_u64 s[50:51], v[8:9], v[10:11]            // c read during atomic != c read during prior load
s_and_b64 s[54:55], s[50:51], s[54:55]             // inBounds & must try again
s_mov_b64 exec, s[56:57]                           // sgprs -> exec
v_cmp_ne_u64 s[50:51], v[12:13], v[14:15]          // c read during atomic != c read during prior load
s_and_b64 s[56:57], s[50:51], s[56:57]             // inBounds & must try again
s_mov_b64 exec, s[58:59]                           // sgprs -> exec
v_cmp_ne_u64 s[50:51], v[24:25], v[26:27]          // c read during atomic != c read during prior load
	;; [unrolled: 3-line block ×3, first 2 shown]
s_and_b64 s[60:61], s[50:51], s[60:61]             // inBounds & must try again

/* or masks to check for exit */
s_mov_b64 s[50:51], 0x0                            // empty mask
s_or_b64 s[50:51], s[54:55], s[50:51]              // or to add threads
s_or_b64 s[50:51], s[56:57], s[50:51]              // or to add threads
	;; [unrolled: 1-line block ×4, first 2 shown]
s_or_saveexec_b64 s[52:53], s[50:51]               // apply combined mask
s_cbranch_execz label_0156                         // if exec is zero skip loop

/* atomic CAS loop */
label_0155:

/* apply updated masks and issue writes again */
s_mov_b64 exec, s[54:55]                           // must try again
v_mov_b32 v10, v8                                  // dataV+2 = tmp (new original C)
v_mov_b32 v11, v9                                  // dataV+3 = tmp (new original C)
v_add_f64 v[8:9], v[10:11], v[vgprValuC+16:vgprValuC+16+1] // newC = rC + originalC
_buffer_atomic_cmpswap_b64 v[8:11], v6, s[sgprSrdD:sgprSrdD+3] 0 offen offset:0 glc   // attempt write
s_mov_b64 exec, s[56:57]                           // must try again
v_mov_b32 v14, v12                                 // dataV+2 = tmp (new original C)
v_mov_b32 v15, v13                                 // dataV+3 = tmp (new original C)
v_add_f64 v[12:13], v[14:15], v[vgprValuC+18:vgprValuC+18+1] // newC = rC + originalC
_buffer_atomic_cmpswap_b64 v[12:15], v6, s[sgprSrdD:sgprSrdD+3] 0 offen offset:8 glc   // attempt write
s_mov_b64 exec, s[58:59]                           // must try again
v_mov_b32 v26, v24                                 // dataV+2 = tmp (new original C)
v_mov_b32 v27, v25                                 // dataV+3 = tmp (new original C)
	;; [unrolled: 5-line block ×3, first 2 shown]
v_add_f64 v[28:29], v[30:31], v[vgprValuC+22:vgprValuC+22+1] // newC = rC + originalC
_buffer_atomic_cmpswap_b64 v[28:31], v7, s[sgprSrdD:sgprSrdD+3] 0 offen offset:8 glc   // attempt write
s_waitcnt vmcnt(0)                                 // wait for atomic writes

/* apply masks and check for success */
s_mov_b64 exec, s[54:55]                           // must try again
v_cmp_ne_u64 s[50:51], v[8:9], v[10:11]            // c read during atomic != c read during prior load
s_and_b64 s[54:55], s[50:51], s[54:55]             // inBounds & must try again
s_mov_b64 exec, s[56:57]                           // must try again
v_cmp_ne_u64 s[50:51], v[12:13], v[14:15]          // c read during atomic != c read during prior load
s_and_b64 s[56:57], s[50:51], s[56:57]             // inBounds & must try again
s_mov_b64 exec, s[58:59]                           // must try again
v_cmp_ne_u64 s[50:51], v[24:25], v[26:27]          // c read during atomic != c read during prior load
	;; [unrolled: 3-line block ×3, first 2 shown]
s_and_b64 s[60:61], s[50:51], s[60:61]             // inBounds & must try again

/* or masks to check for exit */
s_mov_b64 s[50:51], 0x0                            // empty mask
s_or_b64 s[50:51], s[54:55], s[50:51]              // or to add threads
s_or_b64 s[50:51], s[56:57], s[50:51]              // or to add threads
	;; [unrolled: 1-line block ×4, first 2 shown]
s_or_saveexec_b64 s[52:53], s[50:51]               // apply combined mask
s_cbranch_execnz label_0155                        // try again if not complete
label_0156:
s_mov_b64 exec, -1                                 // full mask -> exec
s_nop 0                                            // 1 wait state required when next inst writes vgprs held by previous dwordx4 store inst
/* optSingleColVgpr=0 optSharedColVgpr=0 optSGPRUsage=None optSrdIncForRow=0 */
s_sleep 1 // optimization: sync and wait
s_barrier

/******************************************/
/* Global Write Alpha Edge Batch #31 (d1,d0,vc1,vc0) = */
/*    (31,0,0,0:vw2:vaw:1); (31,1,0,0:vw2:vaw:1) */
/******************************************/

/* calc coords, apply mask, and issue loads (if necessary) */
/* (d1,vc1,d0,vc0)=(31,0,0,0) */
_v_add_co_u32 v1, vcc, v1, 4                       // coord1.1: coord1Vgpr += d1*sg1*VW + vc1

/* Fix for UseInitialStridesCD, emitAddressSetupCode */
s_mul_i32 s50, s[sgprStrideC1J], 4                 // scale stride
_v_add_u32 v2, v2, s50                             // ROWINC- Move cinRowPtr to next row
s_mul_i32 s50, s[sgprStrideD1J], 4                 // scale stride
_v_add_u32 v3, v3, s50                             // Move coutRowPtr to next row
v_cmp_lt_u32 s[50:51], v0, s[sgprSizeI]            // coord0 < size0
v_cmp_lt_u32 s[54:55], v1, s[sgprSizeJ]            // coord1 < size1
s_and_b64 s[54:55], s[50:51], s[54:55]             // in0 && in1
_v_add_lshl_u32 v6, v3, v0, 0x3                    // scaleToBpe: accumulate d0 lower and *= bpe into Cin addr
v_cndmask_b32 v6, -1, v6, s[54:55]                 // LDD clip if OOB. offset
_buffer_load_b128 v[12:15], v6, s[sgprSrdD:sgprSrdD+3], 0, offen offset:0 // load D (atomic) bpm=16 vaw=1
/* (d1,vc1,d0,vc0)=(31,0,1,0) */
s_mov_b32 s50, 128                                 // coordOffset0 d0=1 vc0=0
_v_add_co_u32 v4, vcc, v0, s50                     // coord0.2: coord0 += d0*sg0*VW + vc0
v_cmp_lt_u32 s[50:51], v4, s[sgprSizeI]            // coord0 < size0
v_cmp_lt_u32 s[58:59], v1, s[sgprSizeJ]            // coord1 < size1
s_and_b64 s[58:59], s[50:51], s[58:59]             // in0 && in1
_v_add_lshl_u32 v7, v3, v4, 0x3                    // scaleToBpe: accumulate d0 lower and *= bpe into Cin addr
v_cndmask_b32 v7, -1, v7, s[58:59]                 // LDD clip if OOB. offset
_buffer_load_b128 v[28:31], v7, s[sgprSrdD:sgprSrdD+3], 0, offen offset:0 // load D (atomic) bpm=16 vaw=1
v_accvgpr_read_b32 v[vgprValuC+16], acc230 // copy acc to vreg[248]
v_accvgpr_read_b32 v[vgprValuC+17], acc231 // copy acc to vreg[249]
v_accvgpr_read_b32 v[vgprValuC+18], acc238 // copy acc to vreg[250]
v_accvgpr_read_b32 v[vgprValuC+19], acc239 // copy acc to vreg[251]
v_accvgpr_read_b32 v[vgprValuC+20], acc246 // copy acc to vreg[252]
v_accvgpr_read_b32 v[vgprValuC+21], acc247 // copy acc to vreg[253]
v_accvgpr_read_b32 v[vgprValuC+22], acc254 // copy acc to vreg[254]
v_accvgpr_read_b32 v[vgprValuC+23], acc255 // copy acc to vreg[255]
s_nop 1                                            // 2 wait states required before reading vgpr

/* rC *= alpha batchElements=[(31, 0, 0, 0), (31, 1, 0, 0)] */
v_mul_f64 v[vgprValuC+16:vgprValuC+16+1], s[sgprAlpha:sgprAlpha+1], v[vgprValuC+16:vgprValuC+16+1] // *= alpha
v_mul_f64 v[vgprValuC+18:vgprValuC+18+1], s[sgprAlpha:sgprAlpha+1], v[vgprValuC+18:vgprValuC+18+1] // *= alpha
v_mul_f64 v[vgprValuC+20:vgprValuC+20+1], s[sgprAlpha:sgprAlpha+1], v[vgprValuC+20:vgprValuC+20+1] // *= alpha
v_mul_f64 v[vgprValuC+22:vgprValuC+22+1], s[sgprAlpha:sgprAlpha+1], v[vgprValuC+22:vgprValuC+22+1] // *= alpha
s_waitcnt vmcnt(0)                                 // wait C (atomic)

/* issue first atomic writes */
s_mov_b64 exec, s[54:55]                           // sgprs -> exec (before atomic)
v_mov_b32 v10, v12                                 // v_mov for reordering loaded data
v_mov_b32 v11, v13                                 // v_mov for reordering loaded data
v_add_f64 v[8:9], v[10:11], v[vgprValuC+16:vgprValuC+16+1] // desired value
_buffer_atomic_cmpswap_b64 v[8:11], v6, s[sgprSrdD:sgprSrdD+3] 0 offen offset:0 glc   // attempt write
v_add_f64 v[12:13], v[14:15], v[vgprValuC+18:vgprValuC+18+1] // desired value
_buffer_atomic_cmpswap_b64 v[12:15], v6, s[sgprSrdD:sgprSrdD+3] 0 offen offset:8 glc   // attempt write
s_mov_b64 exec, s[58:59]                           // sgprs -> exec (before atomic)
v_mov_b32 v26, v28                                 // v_mov for reordering loaded data
v_mov_b32 v27, v29                                 // v_mov for reordering loaded data
v_add_f64 v[24:25], v[26:27], v[vgprValuC+20:vgprValuC+20+1] // desired value
_buffer_atomic_cmpswap_b64 v[24:27], v7, s[sgprSrdD:sgprSrdD+3] 0 offen offset:0 glc   // attempt write
v_add_f64 v[28:29], v[30:31], v[vgprValuC+22:vgprValuC+22+1] // desired value
_buffer_atomic_cmpswap_b64 v[28:31], v7, s[sgprSrdD:sgprSrdD+3] 0 offen offset:8 glc   // attempt write
s_mov_b64 s[56:57], s[54:55]                       // copy out of range mask from the first one
s_mov_b64 s[60:61], s[58:59]                       // copy out of range mask from the first one
s_waitcnt vmcnt(0)                                 // wait for atomic writes

/* check success of writes, update masks */
s_mov_b64 exec, s[54:55]                           // sgprs -> exec
v_cmp_ne_u64 s[50:51], v[8:9], v[10:11]            // c read during atomic != c read during prior load
s_and_b64 s[54:55], s[50:51], s[54:55]             // inBounds & must try again
s_mov_b64 exec, s[56:57]                           // sgprs -> exec
v_cmp_ne_u64 s[50:51], v[12:13], v[14:15]          // c read during atomic != c read during prior load
s_and_b64 s[56:57], s[50:51], s[56:57]             // inBounds & must try again
s_mov_b64 exec, s[58:59]                           // sgprs -> exec
v_cmp_ne_u64 s[50:51], v[24:25], v[26:27]          // c read during atomic != c read during prior load
	;; [unrolled: 3-line block ×3, first 2 shown]
s_and_b64 s[60:61], s[50:51], s[60:61]             // inBounds & must try again

/* or masks to check for exit */
s_mov_b64 s[50:51], 0x0                            // empty mask
s_or_b64 s[50:51], s[54:55], s[50:51]              // or to add threads
s_or_b64 s[50:51], s[56:57], s[50:51]              // or to add threads
s_or_b64 s[50:51], s[58:59], s[50:51]              // or to add threads
s_or_b64 s[50:51], s[60:61], s[50:51]              // or to add threads
s_or_saveexec_b64 s[52:53], s[50:51]               // apply combined mask
s_cbranch_execz label_0158                         // if exec is zero skip loop

/* atomic CAS loop */
label_0157:

/* apply updated masks and issue writes again */
s_mov_b64 exec, s[54:55]                           // must try again
v_mov_b32 v10, v8                                  // dataV+2 = tmp (new original C)
v_mov_b32 v11, v9                                  // dataV+3 = tmp (new original C)
v_add_f64 v[8:9], v[10:11], v[vgprValuC+16:vgprValuC+16+1] // newC = rC + originalC
_buffer_atomic_cmpswap_b64 v[8:11], v6, s[sgprSrdD:sgprSrdD+3] 0 offen offset:0 glc   // attempt write
s_mov_b64 exec, s[56:57]                           // must try again
v_mov_b32 v14, v12                                 // dataV+2 = tmp (new original C)
v_mov_b32 v15, v13                                 // dataV+3 = tmp (new original C)
v_add_f64 v[12:13], v[14:15], v[vgprValuC+18:vgprValuC+18+1] // newC = rC + originalC
_buffer_atomic_cmpswap_b64 v[12:15], v6, s[sgprSrdD:sgprSrdD+3] 0 offen offset:8 glc   // attempt write
s_mov_b64 exec, s[58:59]                           // must try again
v_mov_b32 v26, v24                                 // dataV+2 = tmp (new original C)
v_mov_b32 v27, v25                                 // dataV+3 = tmp (new original C)
	;; [unrolled: 5-line block ×3, first 2 shown]
v_add_f64 v[28:29], v[30:31], v[vgprValuC+22:vgprValuC+22+1] // newC = rC + originalC
_buffer_atomic_cmpswap_b64 v[28:31], v7, s[sgprSrdD:sgprSrdD+3] 0 offen offset:8 glc   // attempt write
s_waitcnt vmcnt(0)                                 // wait for atomic writes

/* apply masks and check for success */
s_mov_b64 exec, s[54:55]                           // must try again
v_cmp_ne_u64 s[50:51], v[8:9], v[10:11]            // c read during atomic != c read during prior load
s_and_b64 s[54:55], s[50:51], s[54:55]             // inBounds & must try again
s_mov_b64 exec, s[56:57]                           // must try again
v_cmp_ne_u64 s[50:51], v[12:13], v[14:15]          // c read during atomic != c read during prior load
s_and_b64 s[56:57], s[50:51], s[56:57]             // inBounds & must try again
s_mov_b64 exec, s[58:59]                           // must try again
v_cmp_ne_u64 s[50:51], v[24:25], v[26:27]          // c read during atomic != c read during prior load
	;; [unrolled: 3-line block ×3, first 2 shown]
s_and_b64 s[60:61], s[50:51], s[60:61]             // inBounds & must try again

/* or masks to check for exit */
s_mov_b64 s[50:51], 0x0                            // empty mask
s_or_b64 s[50:51], s[54:55], s[50:51]              // or to add threads
s_or_b64 s[50:51], s[56:57], s[50:51]              // or to add threads
	;; [unrolled: 1-line block ×4, first 2 shown]
s_or_saveexec_b64 s[52:53], s[50:51]               // apply combined mask
s_cbranch_execnz label_0157                        // try again if not complete
label_0158:
s_mov_b64 exec, -1                                 // full mask -> exec
s_nop 0                                            // 1 wait state required when next inst writes vgprs held by previous dwordx4 store inst
s_branch label_GW_End_26                           // jump to end
label_GW_End_26:

label_0159:  /// KernelEnd
s_endpgm                                           // Kernel End

